;; amdgpu-corpus repo=ROCm/rocFFT kind=compiled arch=gfx906 opt=O3
	.text
	.amdgcn_target "amdgcn-amd-amdhsa--gfx906"
	.amdhsa_code_object_version 6
	.protected	fft_rtc_fwd_len884_factors_13_4_17_wgs_204_tpt_68_halfLds_sp_op_CI_CI_unitstride_sbrr_R2C_dirReg ; -- Begin function fft_rtc_fwd_len884_factors_13_4_17_wgs_204_tpt_68_halfLds_sp_op_CI_CI_unitstride_sbrr_R2C_dirReg
	.globl	fft_rtc_fwd_len884_factors_13_4_17_wgs_204_tpt_68_halfLds_sp_op_CI_CI_unitstride_sbrr_R2C_dirReg
	.p2align	8
	.type	fft_rtc_fwd_len884_factors_13_4_17_wgs_204_tpt_68_halfLds_sp_op_CI_CI_unitstride_sbrr_R2C_dirReg,@function
fft_rtc_fwd_len884_factors_13_4_17_wgs_204_tpt_68_halfLds_sp_op_CI_CI_unitstride_sbrr_R2C_dirReg: ; @fft_rtc_fwd_len884_factors_13_4_17_wgs_204_tpt_68_halfLds_sp_op_CI_CI_unitstride_sbrr_R2C_dirReg
; %bb.0:
	s_load_dwordx4 s[8:11], s[4:5], 0x58
	s_load_dwordx4 s[12:15], s[4:5], 0x0
	;; [unrolled: 1-line block ×3, first 2 shown]
	v_mul_u32_u24_e32 v1, 0x3c4, v0
	v_lshrrev_b32_e32 v1, 16, v1
	v_mad_u64_u32 v[3:4], s[0:1], s6, 3, v[1:2]
	v_mov_b32_e32 v5, 0
	v_mov_b32_e32 v1, 0
	;; [unrolled: 1-line block ×3, first 2 shown]
	s_waitcnt lgkmcnt(0)
	v_cmp_lt_u64_e64 s[0:1], s[14:15], 2
	v_mov_b32_e32 v2, 0
	v_mov_b32_e32 v33, v2
	;; [unrolled: 1-line block ×3, first 2 shown]
	s_and_b64 vcc, exec, s[0:1]
	v_mov_b32_e32 v32, v1
	v_mov_b32_e32 v34, v3
	s_cbranch_vccnz .LBB0_8
; %bb.1:
	s_load_dwordx2 s[0:1], s[4:5], 0x10
	s_add_u32 s2, s18, 8
	s_addc_u32 s3, s19, 0
	s_add_u32 s6, s16, 8
	v_mov_b32_e32 v1, 0
	s_addc_u32 s7, s17, 0
	v_mov_b32_e32 v2, 0
	s_waitcnt lgkmcnt(0)
	s_add_u32 s20, s0, 8
	v_mov_b32_e32 v33, v2
	v_mov_b32_e32 v8, v4
	s_addc_u32 s21, s1, 0
	s_mov_b64 s[22:23], 1
	v_mov_b32_e32 v32, v1
	v_mov_b32_e32 v7, v3
.LBB0_2:                                ; =>This Inner Loop Header: Depth=1
	s_load_dwordx2 s[24:25], s[20:21], 0x0
                                        ; implicit-def: $vgpr34_vgpr35
	s_waitcnt lgkmcnt(0)
	v_or_b32_e32 v6, s25, v8
	v_cmp_ne_u64_e32 vcc, 0, v[5:6]
	s_and_saveexec_b64 s[0:1], vcc
	s_xor_b64 s[26:27], exec, s[0:1]
	s_cbranch_execz .LBB0_4
; %bb.3:                                ;   in Loop: Header=BB0_2 Depth=1
	v_cvt_f32_u32_e32 v4, s24
	v_cvt_f32_u32_e32 v6, s25
	s_sub_u32 s0, 0, s24
	s_subb_u32 s1, 0, s25
	v_mac_f32_e32 v4, 0x4f800000, v6
	v_rcp_f32_e32 v4, v4
	v_mul_f32_e32 v4, 0x5f7ffffc, v4
	v_mul_f32_e32 v6, 0x2f800000, v4
	v_trunc_f32_e32 v6, v6
	v_mac_f32_e32 v4, 0xcf800000, v6
	v_cvt_u32_f32_e32 v6, v6
	v_cvt_u32_f32_e32 v4, v4
	v_mul_lo_u32 v9, s0, v6
	v_mul_hi_u32 v10, s0, v4
	v_mul_lo_u32 v12, s1, v4
	v_mul_lo_u32 v11, s0, v4
	v_add_u32_e32 v9, v10, v9
	v_add_u32_e32 v9, v9, v12
	v_mul_hi_u32 v10, v4, v11
	v_mul_lo_u32 v12, v4, v9
	v_mul_hi_u32 v14, v4, v9
	v_mul_hi_u32 v13, v6, v11
	v_mul_lo_u32 v11, v6, v11
	v_mul_hi_u32 v15, v6, v9
	v_add_co_u32_e32 v10, vcc, v10, v12
	v_addc_co_u32_e32 v12, vcc, 0, v14, vcc
	v_mul_lo_u32 v9, v6, v9
	v_add_co_u32_e32 v10, vcc, v10, v11
	v_addc_co_u32_e32 v10, vcc, v12, v13, vcc
	v_addc_co_u32_e32 v11, vcc, 0, v15, vcc
	v_add_co_u32_e32 v9, vcc, v10, v9
	v_addc_co_u32_e32 v10, vcc, 0, v11, vcc
	v_add_co_u32_e32 v4, vcc, v4, v9
	v_addc_co_u32_e32 v6, vcc, v6, v10, vcc
	v_mul_lo_u32 v9, s0, v6
	v_mul_hi_u32 v10, s0, v4
	v_mul_lo_u32 v11, s1, v4
	v_mul_lo_u32 v12, s0, v4
	v_add_u32_e32 v9, v10, v9
	v_add_u32_e32 v9, v9, v11
	v_mul_lo_u32 v13, v4, v9
	v_mul_hi_u32 v14, v4, v12
	v_mul_hi_u32 v15, v4, v9
	;; [unrolled: 1-line block ×3, first 2 shown]
	v_mul_lo_u32 v12, v6, v12
	v_mul_hi_u32 v10, v6, v9
	v_add_co_u32_e32 v13, vcc, v14, v13
	v_addc_co_u32_e32 v14, vcc, 0, v15, vcc
	v_mul_lo_u32 v9, v6, v9
	v_add_co_u32_e32 v12, vcc, v13, v12
	v_addc_co_u32_e32 v11, vcc, v14, v11, vcc
	v_addc_co_u32_e32 v10, vcc, 0, v10, vcc
	v_add_co_u32_e32 v9, vcc, v11, v9
	v_addc_co_u32_e32 v10, vcc, 0, v10, vcc
	v_add_co_u32_e32 v4, vcc, v4, v9
	v_addc_co_u32_e32 v6, vcc, v6, v10, vcc
	v_mad_u64_u32 v[9:10], s[0:1], v7, v6, 0
	v_mul_hi_u32 v11, v7, v4
	v_add_co_u32_e32 v13, vcc, v11, v9
	v_addc_co_u32_e32 v14, vcc, 0, v10, vcc
	v_mad_u64_u32 v[9:10], s[0:1], v8, v4, 0
	v_mad_u64_u32 v[11:12], s[0:1], v8, v6, 0
	v_add_co_u32_e32 v4, vcc, v13, v9
	v_addc_co_u32_e32 v4, vcc, v14, v10, vcc
	v_addc_co_u32_e32 v6, vcc, 0, v12, vcc
	v_add_co_u32_e32 v4, vcc, v4, v11
	v_addc_co_u32_e32 v6, vcc, 0, v6, vcc
	v_mul_lo_u32 v11, s25, v4
	v_mul_lo_u32 v12, s24, v6
	v_mad_u64_u32 v[9:10], s[0:1], s24, v4, 0
	v_add3_u32 v10, v10, v12, v11
	v_sub_u32_e32 v11, v8, v10
	v_mov_b32_e32 v12, s25
	v_sub_co_u32_e32 v9, vcc, v7, v9
	v_subb_co_u32_e64 v11, s[0:1], v11, v12, vcc
	v_subrev_co_u32_e64 v12, s[0:1], s24, v9
	v_subbrev_co_u32_e64 v11, s[0:1], 0, v11, s[0:1]
	v_cmp_le_u32_e64 s[0:1], s25, v11
	v_cndmask_b32_e64 v13, 0, -1, s[0:1]
	v_cmp_le_u32_e64 s[0:1], s24, v12
	v_cndmask_b32_e64 v12, 0, -1, s[0:1]
	v_cmp_eq_u32_e64 s[0:1], s25, v11
	v_cndmask_b32_e64 v11, v13, v12, s[0:1]
	v_add_co_u32_e64 v12, s[0:1], 2, v4
	v_addc_co_u32_e64 v13, s[0:1], 0, v6, s[0:1]
	v_add_co_u32_e64 v14, s[0:1], 1, v4
	v_addc_co_u32_e64 v15, s[0:1], 0, v6, s[0:1]
	v_subb_co_u32_e32 v10, vcc, v8, v10, vcc
	v_cmp_ne_u32_e64 s[0:1], 0, v11
	v_cmp_le_u32_e32 vcc, s25, v10
	v_cndmask_b32_e64 v11, v15, v13, s[0:1]
	v_cndmask_b32_e64 v13, 0, -1, vcc
	v_cmp_le_u32_e32 vcc, s24, v9
	v_cndmask_b32_e64 v9, 0, -1, vcc
	v_cmp_eq_u32_e32 vcc, s25, v10
	v_cndmask_b32_e32 v9, v13, v9, vcc
	v_cmp_ne_u32_e32 vcc, 0, v9
	v_cndmask_b32_e32 v35, v6, v11, vcc
	v_cndmask_b32_e64 v6, v14, v12, s[0:1]
	v_cndmask_b32_e32 v34, v4, v6, vcc
.LBB0_4:                                ;   in Loop: Header=BB0_2 Depth=1
	s_andn2_saveexec_b64 s[0:1], s[26:27]
	s_cbranch_execz .LBB0_6
; %bb.5:                                ;   in Loop: Header=BB0_2 Depth=1
	v_cvt_f32_u32_e32 v4, s24
	s_sub_i32 s26, 0, s24
	v_mov_b32_e32 v35, v5
	v_rcp_iflag_f32_e32 v4, v4
	v_mul_f32_e32 v4, 0x4f7ffffe, v4
	v_cvt_u32_f32_e32 v4, v4
	v_mul_lo_u32 v6, s26, v4
	v_mul_hi_u32 v6, v4, v6
	v_add_u32_e32 v4, v4, v6
	v_mul_hi_u32 v4, v7, v4
	v_mul_lo_u32 v6, v4, s24
	v_add_u32_e32 v9, 1, v4
	v_sub_u32_e32 v6, v7, v6
	v_subrev_u32_e32 v10, s24, v6
	v_cmp_le_u32_e32 vcc, s24, v6
	v_cndmask_b32_e32 v6, v6, v10, vcc
	v_cndmask_b32_e32 v4, v4, v9, vcc
	v_add_u32_e32 v9, 1, v4
	v_cmp_le_u32_e32 vcc, s24, v6
	v_cndmask_b32_e32 v34, v4, v9, vcc
.LBB0_6:                                ;   in Loop: Header=BB0_2 Depth=1
	s_or_b64 exec, exec, s[0:1]
	v_mul_lo_u32 v4, v35, s24
	v_mul_lo_u32 v6, v34, s25
	v_mad_u64_u32 v[9:10], s[0:1], v34, s24, 0
	s_load_dwordx2 s[0:1], s[6:7], 0x0
	s_load_dwordx2 s[24:25], s[2:3], 0x0
	v_add3_u32 v4, v10, v6, v4
	v_sub_co_u32_e32 v6, vcc, v7, v9
	v_subb_co_u32_e32 v4, vcc, v8, v4, vcc
	s_waitcnt lgkmcnt(0)
	v_mul_lo_u32 v7, s0, v4
	v_mul_lo_u32 v8, s1, v6
	v_mad_u64_u32 v[1:2], s[0:1], s0, v6, v[1:2]
	s_add_u32 s22, s22, 1
	s_addc_u32 s23, s23, 0
	s_add_u32 s2, s2, 8
	v_mul_lo_u32 v4, s24, v4
	v_mul_lo_u32 v9, s25, v6
	v_mad_u64_u32 v[32:33], s[0:1], s24, v6, v[32:33]
	v_add3_u32 v2, v8, v2, v7
	s_addc_u32 s3, s3, 0
	v_mov_b32_e32 v6, s14
	s_add_u32 s6, s6, 8
	v_mov_b32_e32 v7, s15
	s_addc_u32 s7, s7, 0
	v_cmp_ge_u64_e32 vcc, s[22:23], v[6:7]
	s_add_u32 s20, s20, 8
	v_add3_u32 v33, v9, v33, v4
	s_addc_u32 s21, s21, 0
	s_cbranch_vccnz .LBB0_8
; %bb.7:                                ;   in Loop: Header=BB0_2 Depth=1
	v_mov_b32_e32 v7, v34
	v_mov_b32_e32 v8, v35
	s_branch .LBB0_2
.LBB0_8:
	s_mov_b32 s0, 0xaaaaaaab
	s_load_dwordx2 s[4:5], s[4:5], 0x28
	v_mul_hi_u32 v4, v3, s0
	s_lshl_b64 s[6:7], s[14:15], 3
	s_add_u32 s2, s18, s6
	s_addc_u32 s3, s19, s7
	v_lshrrev_b32_e32 v4, 1, v4
	v_lshl_add_u32 v4, v4, 1, v4
	s_waitcnt lgkmcnt(0)
	v_cmp_gt_u64_e64 s[0:1], s[4:5], v[34:35]
	v_cmp_le_u64_e32 vcc, s[4:5], v[34:35]
	v_sub_u32_e32 v3, v3, v4
                                        ; implicit-def: $vgpr36
                                        ; implicit-def: $vgpr39
                                        ; implicit-def: $vgpr41
                                        ; implicit-def: $vgpr38
	s_and_saveexec_b64 s[4:5], vcc
	s_xor_b64 s[4:5], exec, s[4:5]
; %bb.9:
	s_mov_b32 s14, 0x3c3c3c4
	v_mul_hi_u32 v1, v0, s14
	v_mul_u32_u24_e32 v1, 0x44, v1
	v_sub_u32_e32 v36, v0, v1
	v_add_u32_e32 v39, 0x44, v36
	v_add_u32_e32 v41, 0x88, v36
	v_add_u32_e32 v38, 0xcc, v36
                                        ; implicit-def: $vgpr0
                                        ; implicit-def: $vgpr1_vgpr2
; %bb.10:
	s_or_saveexec_b64 s[4:5], s[4:5]
	v_mul_u32_u24_e32 v3, 0x375, v3
	v_lshlrev_b32_e32 v48, 3, v3
	s_xor_b64 exec, exec, s[4:5]
	s_cbranch_execz .LBB0_12
; %bb.11:
	s_add_u32 s6, s16, s6
	s_addc_u32 s7, s17, s7
	s_load_dwordx2 s[6:7], s[6:7], 0x0
	s_mov_b32 s14, 0x3c3c3c4
	v_mul_hi_u32 v5, v0, s14
	s_waitcnt lgkmcnt(0)
	v_mul_lo_u32 v6, s7, v34
	v_mul_lo_u32 v7, s6, v35
	v_mad_u64_u32 v[3:4], s[6:7], s6, v34, 0
	v_mul_u32_u24_e32 v5, 0x44, v5
	v_sub_u32_e32 v36, v0, v5
	v_add3_u32 v4, v4, v7, v6
	v_lshlrev_b64 v[3:4], 3, v[3:4]
	v_mov_b32_e32 v0, s9
	v_add_co_u32_e32 v3, vcc, s8, v3
	v_addc_co_u32_e32 v4, vcc, v0, v4, vcc
	v_lshlrev_b64 v[0:1], 3, v[1:2]
	v_lshlrev_b32_e32 v28, 3, v36
	v_add_co_u32_e32 v0, vcc, v3, v0
	v_addc_co_u32_e32 v1, vcc, v4, v1, vcc
	v_add_co_u32_e32 v0, vcc, v0, v28
	v_addc_co_u32_e32 v1, vcc, 0, v1, vcc
	global_load_dwordx2 v[2:3], v[0:1], off offset:2176
	global_load_dwordx2 v[4:5], v[0:1], off offset:2720
	;; [unrolled: 1-line block ×4, first 2 shown]
	global_load_dwordx2 v[10:11], v[0:1], off
	global_load_dwordx2 v[12:13], v[0:1], off offset:544
	global_load_dwordx2 v[14:15], v[0:1], off offset:1088
	;; [unrolled: 1-line block ×3, first 2 shown]
	v_add_co_u32_e32 v0, vcc, 0x1000, v0
	v_addc_co_u32_e32 v1, vcc, 0, v1, vcc
	global_load_dwordx2 v[18:19], v[0:1], off offset:256
	global_load_dwordx2 v[20:21], v[0:1], off offset:800
	global_load_dwordx2 v[22:23], v[0:1], off offset:1344
	global_load_dwordx2 v[24:25], v[0:1], off offset:1888
	global_load_dwordx2 v[26:27], v[0:1], off offset:2432
	v_add3_u32 v0, 0, v48, v28
	v_add_u32_e32 v39, 0x44, v36
	v_add_u32_e32 v41, 0x88, v36
	v_add_u32_e32 v38, 0xcc, v36
	v_add_u32_e32 v1, 0x800, v0
	v_add_u32_e32 v28, 0x1000, v0
	s_waitcnt vmcnt(11)
	ds_write2_b64 v1, v[2:3], v[4:5] offset0:16 offset1:84
	s_waitcnt vmcnt(9)
	ds_write2_b64 v1, v[6:7], v[8:9] offset0:152 offset1:220
	s_waitcnt vmcnt(7)
	ds_write2_b64 v0, v[10:11], v[12:13] offset1:68
	s_waitcnt vmcnt(5)
	ds_write2_b64 v0, v[14:15], v[16:17] offset0:136 offset1:204
	s_waitcnt vmcnt(3)
	ds_write2_b64 v28, v[18:19], v[20:21] offset0:32 offset1:100
	;; [unrolled: 2-line block ×3, first 2 shown]
	s_waitcnt vmcnt(0)
	ds_write_b64 v0, v[26:27] offset:6528
.LBB0_12:
	s_or_b64 exec, exec, s[4:5]
	v_add_u32_e32 v44, 0, v48
	v_lshlrev_b32_e32 v37, 3, v36
	v_add_u32_e32 v45, v44, v37
	v_add3_u32 v40, 0, v37, v48
	s_load_dwordx2 s[2:3], s[2:3], 0x0
	s_waitcnt lgkmcnt(0)
	s_barrier
	ds_read_b64 v[30:31], v45
	ds_read2_b64 v[14:17], v40 offset0:68 offset1:136
	v_add_u32_e32 v11, 0x400, v40
	ds_read2_b64 v[18:21], v11 offset0:76 offset1:144
	v_add_u32_e32 v12, 0x800, v40
	;; [unrolled: 2-line block ×3, first 2 shown]
	v_add_u32_e32 v10, 0xc00, v40
	ds_read2_b64 v[26:29], v8 offset0:108 offset1:176
	s_waitcnt lgkmcnt(3)
	v_add_f32_e32 v8, v30, v14
	ds_read2_b64 v[4:7], v10 offset0:92 offset1:160
	v_add_f32_e32 v9, v31, v15
	v_add_f32_e32 v8, v8, v16
	v_add_u32_e32 v13, 0x1000, v40
	v_add_f32_e32 v9, v9, v17
	s_waitcnt lgkmcnt(3)
	v_add_f32_e32 v8, v8, v18
	ds_read2_b64 v[22:25], v13 offset0:100 offset1:168
	v_add_f32_e32 v9, v9, v19
	v_add_f32_e32 v8, v8, v20
	v_add_f32_e32 v9, v9, v21
	s_waitcnt lgkmcnt(3)
	v_add_f32_e32 v8, v8, v0
	v_add_f32_e32 v9, v9, v1
	v_add_f32_e32 v8, v8, v2
	v_add_f32_e32 v9, v9, v3
	s_waitcnt lgkmcnt(1)
	v_add_f32_e32 v8, v8, v4
	;; [unrolled: 5-line block ×3, first 2 shown]
	v_add_f32_e32 v42, v28, v14
	v_sub_f32_e32 v14, v14, v28
	v_add_f32_e32 v9, v9, v23
	v_add_f32_e32 v8, v8, v24
	v_mul_f32_e32 v46, 0xbeedf032, v14
	v_mul_f32_e32 v51, 0xbf52af12, v14
	;; [unrolled: 1-line block ×6, first 2 shown]
	v_add_f32_e32 v9, v9, v25
	v_add_f32_e32 v8, v8, v26
	;; [unrolled: 1-line block ×3, first 2 shown]
	v_sub_f32_e32 v15, v15, v29
	s_mov_b32 s6, 0x3f62ad3f
	v_mov_b32_e32 v47, v46
	s_mov_b32 s5, 0x3f116cb1
	v_mov_b32_e32 v52, v51
	;; [unrolled: 2-line block ×6, first 2 shown]
	v_add_f32_e32 v9, v9, v27
	v_add_f32_e32 v8, v8, v28
	v_mul_f32_e32 v28, 0xbeedf032, v15
	v_fmac_f32_e32 v47, 0x3f62ad3f, v43
	v_fma_f32 v46, v43, s6, -v46
	v_mul_f32_e32 v49, 0xbf52af12, v15
	v_fmac_f32_e32 v52, 0x3f116cb1, v43
	v_fma_f32 v51, v43, s5, -v51
	;; [unrolled: 3-line block ×6, first 2 shown]
	v_add_f32_e32 v9, v9, v29
	v_fma_f32 v29, v42, s6, -v28
	v_add_f32_e32 v47, v31, v47
	v_fmac_f32_e32 v28, 0x3f62ad3f, v42
	v_add_f32_e32 v46, v31, v46
	v_fma_f32 v50, v42, s5, -v49
	v_add_f32_e32 v52, v31, v52
	v_fmac_f32_e32 v49, 0x3f116cb1, v42
	v_add_f32_e32 v51, v31, v51
	v_fma_f32 v54, v42, s4, -v53
	v_add_f32_e32 v56, v31, v56
	v_fmac_f32_e32 v53, 0x3df6dbef, v42
	v_add_f32_e32 v55, v31, v55
	v_fma_f32 v58, v42, s7, -v57
	v_add_f32_e32 v60, v31, v60
	v_fmac_f32_e32 v57, 0xbeb58ec6, v42
	v_add_f32_e32 v59, v31, v59
	v_fma_f32 v62, v42, s8, -v61
	v_add_f32_e32 v64, v31, v64
	v_fmac_f32_e32 v61, 0xbf3f9e67, v42
	v_add_f32_e32 v63, v31, v63
	v_fma_f32 v65, v42, s9, -v15
	v_add_f32_e32 v66, v31, v66
	v_fmac_f32_e32 v15, 0xbf788fa5, v42
	v_add_f32_e32 v14, v31, v14
	v_add_f32_e32 v31, v27, v17
	v_sub_f32_e32 v17, v17, v27
	v_add_f32_e32 v29, v30, v29
	v_add_f32_e32 v28, v30, v28
	;; [unrolled: 1-line block ×13, first 2 shown]
	v_sub_f32_e32 v16, v16, v26
	v_mul_f32_e32 v26, 0xbf52af12, v17
	v_fma_f32 v27, v30, s5, -v26
	v_add_f32_e32 v27, v27, v29
	v_mul_f32_e32 v29, 0xbf52af12, v16
	v_fmac_f32_e32 v26, 0x3f116cb1, v30
	v_mov_b32_e32 v42, v29
	v_add_f32_e32 v26, v26, v28
	v_fma_f32 v28, v31, s5, -v29
	v_mul_f32_e32 v29, 0xbf6f5d39, v17
	v_fma_f32 v43, v30, s7, -v29
	v_fmac_f32_e32 v29, 0xbeb58ec6, v30
	v_fmac_f32_e32 v42, 0x3f116cb1, v31
	v_add_f32_e32 v28, v28, v46
	v_mul_f32_e32 v46, 0xbf6f5d39, v16
	v_add_f32_e32 v29, v29, v49
	v_mul_f32_e32 v49, 0xbe750f2a, v17
	v_add_f32_e32 v42, v42, v47
	v_add_f32_e32 v43, v43, v50
	v_mov_b32_e32 v47, v46
	v_fma_f32 v46, v31, s7, -v46
	v_fma_f32 v50, v30, s9, -v49
	v_fmac_f32_e32 v49, 0xbf788fa5, v30
	v_fmac_f32_e32 v47, 0xbeb58ec6, v31
	v_add_f32_e32 v46, v46, v51
	v_mul_f32_e32 v51, 0xbe750f2a, v16
	v_add_f32_e32 v49, v49, v53
	v_mul_f32_e32 v53, 0x3f29c268, v17
	v_add_f32_e32 v47, v47, v52
	v_add_f32_e32 v50, v50, v54
	v_mov_b32_e32 v52, v51
	v_fma_f32 v51, v31, s9, -v51
	;; [unrolled: 11-line block ×3, first 2 shown]
	v_fma_f32 v58, v30, s4, -v57
	v_fmac_f32_e32 v57, 0x3df6dbef, v30
	v_mul_f32_e32 v17, 0x3eedf032, v17
	v_add_f32_e32 v55, v55, v59
	v_mul_f32_e32 v59, 0x3f7e222b, v16
	v_add_f32_e32 v57, v57, v61
	v_fma_f32 v61, v30, s6, -v17
	v_mul_f32_e32 v16, 0x3eedf032, v16
	v_fmac_f32_e32 v17, 0x3f62ad3f, v30
	v_add_f32_e32 v58, v58, v62
	v_mov_b32_e32 v62, v16
	v_add_f32_e32 v15, v17, v15
	v_fma_f32 v16, v31, s6, -v16
	v_add_f32_e32 v17, v25, v19
	v_sub_f32_e32 v19, v19, v25
	v_add_f32_e32 v14, v16, v14
	v_add_f32_e32 v16, v24, v18
	v_sub_f32_e32 v18, v18, v24
	v_mul_f32_e32 v24, 0xbf7e222b, v19
	v_fma_f32 v25, v16, s4, -v24
	v_fmac_f32_e32 v56, 0xbf3f9e67, v31
	v_add_f32_e32 v25, v25, v27
	v_mul_f32_e32 v27, 0xbf7e222b, v18
	v_fmac_f32_e32 v24, 0x3df6dbef, v16
	v_add_f32_e32 v56, v56, v60
	v_mov_b32_e32 v60, v59
	v_mov_b32_e32 v30, v27
	v_add_f32_e32 v24, v24, v26
	v_fma_f32 v26, v17, s4, -v27
	v_mul_f32_e32 v27, 0xbe750f2a, v19
	v_fmac_f32_e32 v60, 0x3df6dbef, v31
	v_fma_f32 v59, v31, s4, -v59
	v_fmac_f32_e32 v62, 0x3f62ad3f, v31
	v_fmac_f32_e32 v30, 0x3df6dbef, v17
	v_add_f32_e32 v26, v26, v28
	v_fma_f32 v28, v16, s9, -v27
	v_mul_f32_e32 v31, 0xbe750f2a, v18
	v_fmac_f32_e32 v27, 0xbf788fa5, v16
	v_add_f32_e32 v30, v30, v42
	v_mov_b32_e32 v42, v31
	v_add_f32_e32 v27, v27, v29
	v_fma_f32 v29, v17, s9, -v31
	v_mul_f32_e32 v31, 0x3f6f5d39, v19
	v_add_f32_e32 v28, v28, v43
	v_fma_f32 v43, v16, s7, -v31
	v_fmac_f32_e32 v31, 0xbeb58ec6, v16
	v_fmac_f32_e32 v42, 0xbf788fa5, v17
	v_add_f32_e32 v29, v29, v46
	v_mul_f32_e32 v46, 0x3f6f5d39, v18
	v_add_f32_e32 v31, v31, v49
	v_mul_f32_e32 v49, 0x3eedf032, v19
	v_add_f32_e32 v42, v42, v47
	v_add_f32_e32 v43, v43, v50
	v_mov_b32_e32 v47, v46
	v_fma_f32 v46, v17, s7, -v46
	v_fma_f32 v50, v16, s6, -v49
	v_fmac_f32_e32 v49, 0x3f62ad3f, v16
	v_fmac_f32_e32 v47, 0xbeb58ec6, v17
	v_add_f32_e32 v46, v46, v51
	v_mul_f32_e32 v51, 0x3eedf032, v18
	v_add_f32_e32 v49, v49, v53
	v_mul_f32_e32 v53, 0xbf52af12, v19
	v_add_f32_e32 v47, v47, v52
	v_add_f32_e32 v50, v50, v54
	v_mov_b32_e32 v52, v51
	v_fma_f32 v51, v17, s6, -v51
	v_fma_f32 v54, v16, s5, -v53
	v_fmac_f32_e32 v53, 0x3f116cb1, v16
	v_mul_f32_e32 v19, 0xbf29c268, v19
	v_add_f32_e32 v51, v51, v55
	v_mul_f32_e32 v55, 0xbf52af12, v18
	v_add_f32_e32 v53, v53, v57
	v_fma_f32 v57, v16, s8, -v19
	v_mul_f32_e32 v18, 0xbf29c268, v18
	v_fmac_f32_e32 v19, 0xbf3f9e67, v16
	v_fmac_f32_e32 v52, 0x3f62ad3f, v17
	v_add_f32_e32 v15, v19, v15
	v_fma_f32 v16, v17, s8, -v18
	v_sub_f32_e32 v19, v21, v23
	v_add_f32_e32 v52, v52, v56
	v_add_f32_e32 v54, v54, v58
	v_mov_b32_e32 v56, v55
	v_mov_b32_e32 v58, v18
	v_add_f32_e32 v14, v16, v14
	v_add_f32_e32 v16, v22, v20
	v_sub_f32_e32 v18, v20, v22
	v_mul_f32_e32 v20, 0xbf6f5d39, v19
	v_fmac_f32_e32 v56, 0x3f116cb1, v17
	v_fma_f32 v55, v17, s5, -v55
	v_fmac_f32_e32 v58, 0xbf3f9e67, v17
	v_add_f32_e32 v17, v23, v21
	v_fma_f32 v21, v16, s7, -v20
	v_mul_f32_e32 v22, 0xbf6f5d39, v18
	v_fmac_f32_e32 v20, 0xbeb58ec6, v16
	v_mov_b32_e32 v23, v22
	v_add_f32_e32 v20, v20, v24
	v_fma_f32 v22, v17, s7, -v22
	v_mul_f32_e32 v24, 0x3f29c268, v19
	v_add_f32_e32 v21, v21, v25
	v_add_f32_e32 v22, v22, v26
	v_fma_f32 v25, v16, s8, -v24
	v_mul_f32_e32 v26, 0x3f29c268, v18
	v_fmac_f32_e32 v24, 0xbf3f9e67, v16
	v_fmac_f32_e32 v23, 0xbeb58ec6, v17
	v_add_f32_e32 v25, v25, v28
	v_mov_b32_e32 v28, v26
	v_add_f32_e32 v24, v24, v27
	v_fma_f32 v26, v17, s8, -v26
	v_mul_f32_e32 v27, 0x3eedf032, v19
	v_add_f32_e32 v23, v23, v30
	v_fmac_f32_e32 v28, 0xbf3f9e67, v17
	v_add_f32_e32 v26, v26, v29
	v_fma_f32 v29, v16, s6, -v27
	v_mul_f32_e32 v30, 0x3eedf032, v18
	v_fmac_f32_e32 v27, 0x3f62ad3f, v16
	v_add_f32_e32 v28, v28, v42
	v_mov_b32_e32 v42, v30
	v_add_f32_e32 v27, v27, v31
	v_fma_f32 v30, v17, s6, -v30
	v_mul_f32_e32 v31, 0xbf7e222b, v19
	v_add_f32_e32 v29, v29, v43
	v_fmac_f32_e32 v42, 0x3f62ad3f, v17
	v_add_f32_e32 v30, v30, v46
	v_fma_f32 v43, v16, s4, -v31
	v_mul_f32_e32 v46, 0xbf7e222b, v18
	;; [unrolled: 11-line block ×3, first 2 shown]
	v_fmac_f32_e32 v49, 0xbf788fa5, v16
	v_mul_f32_e32 v19, 0x3f52af12, v19
	v_mul_f32_e32 v18, 0x3f52af12, v18
	v_add_f32_e32 v47, v47, v52
	v_add_f32_e32 v50, v50, v54
	v_mov_b32_e32 v52, v51
	v_add_f32_e32 v49, v49, v53
	v_fma_f32 v53, v16, s5, -v19
	v_mov_b32_e32 v54, v18
	v_fmac_f32_e32 v19, 0x3f116cb1, v16
	v_fma_f32 v16, v17, s5, -v18
	v_fmac_f32_e32 v52, 0xbf788fa5, v17
	v_fma_f32 v51, v17, s9, -v51
	v_fmac_f32_e32 v54, 0x3f116cb1, v17
	v_add_f32_e32 v14, v16, v14
	v_add_f32_e32 v16, v6, v0
	;; [unrolled: 1-line block ×3, first 2 shown]
	v_sub_f32_e32 v0, v0, v6
	v_sub_f32_e32 v1, v1, v7
	v_mul_f32_e32 v6, 0xbf29c268, v1
	v_mul_f32_e32 v18, 0xbf29c268, v0
	v_add_f32_e32 v15, v19, v15
	v_fma_f32 v7, v16, s8, -v6
	v_mov_b32_e32 v19, v18
	v_fmac_f32_e32 v6, 0xbf3f9e67, v16
	v_fma_f32 v18, v17, s8, -v18
	v_fmac_f32_e32 v19, 0xbf3f9e67, v17
	v_add_f32_e32 v6, v6, v20
	v_add_f32_e32 v18, v18, v22
	v_mul_f32_e32 v20, 0x3f7e222b, v1
	v_mul_f32_e32 v22, 0x3f7e222b, v0
	v_add_f32_e32 v7, v7, v21
	v_add_f32_e32 v19, v19, v23
	v_fma_f32 v21, v16, s4, -v20
	v_mov_b32_e32 v23, v22
	v_fmac_f32_e32 v20, 0x3df6dbef, v16
	v_fma_f32 v22, v17, s4, -v22
	v_fmac_f32_e32 v23, 0x3df6dbef, v17
	v_add_f32_e32 v20, v20, v24
	v_add_f32_e32 v24, v22, v26
	v_mul_f32_e32 v22, 0xbf52af12, v1
	v_add_f32_e32 v21, v21, v25
	v_add_f32_e32 v25, v23, v28
	v_fma_f32 v23, v16, s5, -v22
	v_add_f32_e32 v26, v23, v29
	v_mul_f32_e32 v23, 0xbf52af12, v0
	v_fmac_f32_e32 v22, 0x3f116cb1, v16
	v_add_f32_e32 v27, v22, v27
	v_fma_f32 v22, v17, s5, -v23
	v_add_f32_e32 v29, v22, v30
	v_mul_f32_e32 v22, 0x3e750f2a, v1
	v_mov_b32_e32 v28, v23
	v_fma_f32 v23, v16, s9, -v22
	v_add_f32_e32 v30, v23, v43
	v_mul_f32_e32 v23, 0x3e750f2a, v0
	v_fmac_f32_e32 v22, 0xbf788fa5, v16
	v_add_f32_e32 v31, v22, v31
	v_fma_f32 v22, v17, s9, -v23
	v_fmac_f32_e32 v28, 0x3f116cb1, v17
	v_add_f32_e32 v43, v22, v46
	v_mul_f32_e32 v22, 0x3eedf032, v1
	v_add_f32_e32 v59, v59, v63
	v_add_f32_e32 v28, v28, v42
	v_mov_b32_e32 v42, v23
	v_fma_f32 v23, v16, s6, -v22
	v_add_f32_e32 v61, v61, v65
	v_add_f32_e32 v55, v55, v59
	;; [unrolled: 1-line block ×3, first 2 shown]
	v_mul_f32_e32 v23, 0x3eedf032, v0
	v_fmac_f32_e32 v22, 0x3f62ad3f, v16
	v_add_f32_e32 v62, v62, v66
	v_add_f32_e32 v57, v57, v61
	;; [unrolled: 1-line block ×4, first 2 shown]
	v_fma_f32 v22, v17, s6, -v23
	v_mul_f32_e32 v1, 0xbf6f5d39, v1
	v_add_f32_e32 v60, v60, v64
	v_add_f32_e32 v58, v58, v62
	;; [unrolled: 1-line block ×3, first 2 shown]
	v_fmac_f32_e32 v42, 0xbf788fa5, v17
	v_add_f32_e32 v50, v22, v51
	v_fma_f32 v22, v16, s7, -v1
	v_mul_f32_e32 v0, 0xbf6f5d39, v0
	v_add_f32_e32 v56, v56, v60
	v_add_f32_e32 v54, v54, v58
	;; [unrolled: 1-line block ×3, first 2 shown]
	v_mov_b32_e32 v47, v23
	v_add_f32_e32 v51, v22, v53
	v_mov_b32_e32 v22, v0
	v_sub_f32_e32 v58, v3, v5
	v_add_f32_e32 v52, v52, v56
	v_fmac_f32_e32 v47, 0x3f62ad3f, v17
	v_fmac_f32_e32 v22, 0xbeb58ec6, v17
	;; [unrolled: 1-line block ×3, first 2 shown]
	v_fma_f32 v0, v17, s7, -v0
	v_add_f32_e32 v55, v4, v2
	v_sub_f32_e32 v57, v2, v4
	v_mul_f32_e32 v2, 0xbe750f2a, v58
	v_add_f32_e32 v47, v47, v52
	v_add_f32_e32 v52, v22, v54
	;; [unrolled: 1-line block ×5, first 2 shown]
	v_fma_f32 v0, v55, s9, -v2
	v_mul_f32_e32 v3, 0xbe750f2a, v57
	v_fmac_f32_e32 v2, 0xbf788fa5, v55
	v_mul_f32_e32 v5, 0x3eedf032, v57
	v_mul_f32_e32 v15, 0xbf29c268, v57
	v_add_f32_e32 v0, v0, v7
	v_mov_b32_e32 v1, v3
	v_add_f32_e32 v22, v2, v6
	v_fma_f32 v2, v56, s9, -v3
	v_mov_b32_e32 v3, v5
	v_mov_b32_e32 v7, v15
	v_fmac_f32_e32 v1, 0xbf788fa5, v56
	v_mul_f32_e32 v4, 0x3eedf032, v58
	v_fmac_f32_e32 v3, 0x3f62ad3f, v56
	v_fma_f32 v5, v56, s6, -v5
	v_mul_f32_e32 v14, 0xbf29c268, v58
	v_fmac_f32_e32 v7, 0xbf3f9e67, v56
	v_fma_f32 v15, v56, s8, -v15
	v_add_f32_e32 v1, v1, v19
	v_add_f32_e32 v23, v2, v18
	v_fma_f32 v2, v55, s6, -v4
	v_add_f32_e32 v3, v3, v25
	v_fmac_f32_e32 v4, 0x3f62ad3f, v55
	v_add_f32_e32 v5, v5, v24
	v_fma_f32 v6, v55, s8, -v14
	v_add_f32_e32 v7, v7, v28
	v_fmac_f32_e32 v14, 0xbf3f9e67, v55
	v_add_f32_e32 v15, v15, v29
	v_mul_f32_e32 v18, 0x3f52af12, v58
	v_mul_f32_e32 v19, 0x3f52af12, v57
	v_mul_f32_e32 v24, 0xbf6f5d39, v58
	v_mul_f32_e32 v25, 0xbf6f5d39, v57
	v_mul_f32_e32 v28, 0x3f7e222b, v58
	v_mul_f32_e32 v29, 0x3f7e222b, v57
	v_add_f32_e32 v2, v2, v21
	v_add_f32_e32 v4, v4, v20
	;; [unrolled: 1-line block ×4, first 2 shown]
	v_fma_f32 v16, v55, s5, -v18
	v_mov_b32_e32 v17, v19
	v_fma_f32 v20, v55, s7, -v24
	v_mov_b32_e32 v21, v25
	v_fmac_f32_e32 v24, 0xbeb58ec6, v55
	v_fma_f32 v25, v56, s7, -v25
	v_fma_f32 v26, v55, s4, -v28
	v_mov_b32_e32 v27, v29
	v_fma_f32 v29, v56, s4, -v29
	s_movk_i32 s4, 0x68
	v_add_f32_e32 v16, v16, v30
	v_fmac_f32_e32 v17, 0x3f116cb1, v56
	v_fmac_f32_e32 v18, 0x3f116cb1, v55
	v_fma_f32 v19, v56, s5, -v19
	v_fmac_f32_e32 v21, 0xbeb58ec6, v56
	v_add_f32_e32 v24, v24, v49
	v_add_f32_e32 v25, v25, v50
	v_fmac_f32_e32 v27, 0x3df6dbef, v56
	v_fmac_f32_e32 v28, 0x3df6dbef, v55
	v_mad_u32_u24 v30, v36, s4, v44
	v_add_f32_e32 v17, v17, v42
	v_add_f32_e32 v18, v18, v31
	;; [unrolled: 1-line block ×9, first 2 shown]
	s_barrier
	ds_write2_b64 v30, v[8:9], v[0:1] offset1:1
	ds_write2_b64 v30, v[2:3], v[6:7] offset0:2 offset1:3
	ds_write2_b64 v30, v[16:17], v[20:21] offset0:4 offset1:5
	;; [unrolled: 1-line block ×5, first 2 shown]
	ds_write_b64 v30, v[22:23] offset:96
	s_waitcnt lgkmcnt(0)
	s_barrier
	ds_read_b64 v[24:25], v45
	ds_read2_b64 v[4:7], v11 offset0:93 offset1:161
	ds_read2_b64 v[0:3], v12 offset0:101 offset1:186
	;; [unrolled: 1-line block ×3, first 2 shown]
	v_lshl_add_u32 v46, v41, 3, v44
	v_lshl_add_u32 v47, v39, 3, v44
	ds_read2_b64 v[8:11], v10 offset0:126 offset1:194
	ds_read_b64 v[20:21], v46
	ds_read_b64 v[26:27], v47
	ds_read_b64 v[28:29], v40 offset:6392
	v_cmp_gt_u32_e32 vcc, 17, v36
                                        ; implicit-def: $vgpr17
                                        ; implicit-def: $vgpr31
	s_and_saveexec_b64 s[4:5], vcc
	s_cbranch_execz .LBB0_14
; %bb.13:
	v_lshlrev_b32_e32 v16, 3, v38
	v_add3_u32 v22, 0, v16, v48
	v_add_u32_e32 v16, 0xd00, v40
	ds_read2_b64 v[16:19], v16 offset0:9 offset1:230
	ds_read_b64 v[22:23], v22
	ds_read_b64 v[30:31], v40 offset:6936
.LBB0_14:
	s_or_b64 exec, exec, s[4:5]
	s_movk_i32 s6, 0x4f
	v_mul_lo_u16_sdwa v42, v36, s6 dst_sel:DWORD dst_unused:UNUSED_PAD src0_sel:BYTE_0 src1_sel:DWORD
	v_lshrrev_b16_e32 v72, 10, v42
	v_mul_lo_u16_e32 v42, 13, v72
	v_sub_u16_e32 v73, v36, v42
	v_mov_b32_e32 v74, 3
	v_mul_u32_u24_sdwa v42, v73, v74 dst_sel:DWORD dst_unused:UNUSED_PAD src0_sel:BYTE_0 src1_sel:DWORD
	v_lshlrev_b32_e32 v49, 3, v42
	global_load_dwordx2 v[42:43], v49, s[12:13] offset:16
	global_load_dwordx4 v[50:53], v49, s[12:13]
	v_mul_lo_u16_sdwa v49, v39, s6 dst_sel:DWORD dst_unused:UNUSED_PAD src0_sel:BYTE_0 src1_sel:DWORD
	v_lshrrev_b16_e32 v75, 10, v49
	v_mul_lo_u16_e32 v49, 13, v75
	v_sub_u16_e32 v76, v39, v49
	v_mul_u32_u24_sdwa v49, v76, v74 dst_sel:DWORD dst_unused:UNUSED_PAD src0_sel:BYTE_0 src1_sel:DWORD
	v_lshlrev_b32_e32 v49, 3, v49
	global_load_dwordx4 v[54:57], v49, s[12:13]
	global_load_dwordx2 v[66:67], v49, s[12:13] offset:16
	v_mul_lo_u16_sdwa v49, v41, s6 dst_sel:DWORD dst_unused:UNUSED_PAD src0_sel:BYTE_0 src1_sel:DWORD
	v_lshrrev_b16_e32 v77, 10, v49
	v_mul_lo_u16_e32 v49, 13, v77
	v_sub_u16_e32 v78, v41, v49
	v_mul_u32_u24_sdwa v49, v78, v74 dst_sel:DWORD dst_unused:UNUSED_PAD src0_sel:BYTE_0 src1_sel:DWORD
	v_lshlrev_b32_e32 v49, 3, v49
	s_movk_i32 s4, 0x4ec5
	global_load_dwordx4 v[58:61], v49, s[12:13]
	global_load_dwordx2 v[68:69], v49, s[12:13] offset:16
	v_mul_u32_u24_sdwa v49, v38, s4 dst_sel:DWORD dst_unused:UNUSED_PAD src0_sel:WORD_0 src1_sel:DWORD
	v_lshrrev_b32_e32 v49, 18, v49
	v_mul_lo_u16_e32 v49, 13, v49
	v_sub_u16_e32 v49, v38, v49
	v_mul_u32_u24_e32 v62, 3, v49
	v_lshlrev_b32_e32 v79, 3, v62
	global_load_dwordx4 v[62:65], v79, s[12:13]
	global_load_dwordx2 v[70:71], v79, s[12:13] offset:16
	s_movk_i32 s7, 0x1a0
	s_waitcnt vmcnt(0) lgkmcnt(0)
	s_barrier
	v_mul_f32_e32 v81, v43, v13
	v_mul_f32_e32 v79, v51, v5
	;; [unrolled: 1-line block ×6, first 2 shown]
	v_fma_f32 v12, v42, v12, -v81
	v_mul_f32_e32 v82, v55, v7
	v_fma_f32 v4, v50, v4, -v79
	v_fma_f32 v2, v52, v2, -v80
	v_mul_f32_e32 v55, v55, v6
	v_mul_f32_e32 v84, v57, v9
	;; [unrolled: 1-line block ×3, first 2 shown]
	v_fmac_f32_e32 v43, v42, v13
	v_fmac_f32_e32 v51, v50, v5
	v_mul_f32_e32 v85, v59, v1
	v_mul_f32_e32 v59, v59, v0
	v_fmac_f32_e32 v53, v52, v3
	v_fma_f32 v3, v54, v6, -v82
	v_fma_f32 v6, v58, v0, -v85
	v_sub_f32_e32 v0, v24, v2
	v_sub_f32_e32 v2, v4, v12
	v_mul_f32_e32 v83, v67, v15
	v_mul_f32_e32 v67, v67, v14
	;; [unrolled: 1-line block ×4, first 2 shown]
	v_fma_f32 v5, v56, v8, -v84
	v_fmac_f32_e32 v57, v56, v9
	v_fmac_f32_e32 v59, v58, v1
	v_sub_f32_e32 v1, v25, v53
	v_sub_f32_e32 v8, v51, v43
	v_fma_f32 v9, v24, 2.0, -v0
	v_fma_f32 v4, v4, 2.0, -v2
	v_mul_f32_e32 v87, v29, v69
	v_mul_f32_e32 v69, v28, v69
	;; [unrolled: 1-line block ×3, first 2 shown]
	v_fma_f32 v81, v66, v14, -v83
	v_fmac_f32_e32 v67, v66, v15
	v_fmac_f32_e32 v55, v54, v7
	v_fma_f32 v7, v60, v10, -v86
	v_fmac_f32_e32 v61, v60, v11
	v_fma_f32 v10, v25, 2.0, -v1
	v_fma_f32 v11, v51, 2.0, -v8
	v_sub_f32_e32 v14, v9, v4
	v_mul_f32_e32 v63, v16, v63
	v_mul_f32_e32 v89, v19, v65
	;; [unrolled: 1-line block ×4, first 2 shown]
	v_fmac_f32_e32 v69, v29, v68
	v_fma_f32 v29, v16, v62, -v88
	v_sub_f32_e32 v15, v10, v11
	v_fma_f32 v42, v9, 2.0, -v14
	v_add_f32_e32 v9, v1, v2
	v_sub_f32_e32 v4, v27, v57
	v_sub_f32_e32 v16, v55, v67
	v_mul_f32_e32 v71, v30, v71
	v_fmac_f32_e32 v65, v19, v64
	v_fma_f32 v30, v30, v70, -v90
	v_fma_f32 v43, v10, 2.0, -v15
	v_sub_f32_e32 v8, v0, v8
	v_fma_f32 v13, v1, 2.0, -v9
	v_sub_f32_e32 v2, v26, v5
	;; [unrolled: 2-line block ×3, first 2 shown]
	v_fma_f32 v10, v55, 2.0, -v16
	v_fma_f32 v12, v0, 2.0, -v8
	;; [unrolled: 1-line block ×4, first 2 shown]
	v_sub_f32_e32 v19, v1, v10
	v_sub_f32_e32 v25, v23, v65
	;; [unrolled: 1-line block ×3, first 2 shown]
	v_fma_f32 v50, v18, v64, -v89
	v_fmac_f32_e32 v71, v31, v70
	v_sub_f32_e32 v18, v0, v3
	v_fma_f32 v11, v1, 2.0, -v19
	v_add_f32_e32 v1, v4, v5
	v_fma_f32 v26, v29, 2.0, -v30
	v_add_f32_e32 v29, v25, v30
	v_mad_u32_u24 v30, v72, s7, 0
	v_lshlrev_b32_sdwa v31, v74, v73 dst_sel:DWORD dst_unused:UNUSED_PAD src0_sel:DWORD src1_sel:BYTE_0
	v_fma_f32 v28, v28, v68, -v87
	v_fmac_f32_e32 v63, v17, v62
	v_fma_f32 v10, v0, 2.0, -v18
	v_sub_f32_e32 v0, v2, v16
	v_fma_f32 v17, v4, 2.0, -v1
	v_sub_f32_e32 v4, v20, v7
	v_sub_f32_e32 v5, v21, v61
	v_add3_u32 v30, v30, v31, v48
	v_fma_f32 v16, v2, 2.0, -v0
	v_fma_f32 v2, v20, 2.0, -v4
	;; [unrolled: 1-line block ×3, first 2 shown]
	v_sub_f32_e32 v21, v6, v28
	v_sub_f32_e32 v20, v59, v69
	;; [unrolled: 1-line block ×4, first 2 shown]
	ds_write2_b64 v30, v[42:43], v[12:13] offset1:13
	ds_write2_b64 v30, v[14:15], v[8:9] offset0:26 offset1:39
	v_mad_u32_u24 v30, v75, s7, 0
	v_lshlrev_b32_sdwa v31, v74, v76 dst_sel:DWORD dst_unused:UNUSED_PAD src0_sel:DWORD src1_sel:BYTE_0
	v_fma_f32 v6, v6, 2.0, -v21
	v_fma_f32 v7, v59, 2.0, -v20
	;; [unrolled: 1-line block ×5, first 2 shown]
	v_add3_u32 v30, v30, v31, v48
	v_sub_f32_e32 v6, v2, v6
	v_sub_f32_e32 v7, v3, v7
	;; [unrolled: 1-line block ×3, first 2 shown]
	v_add_f32_e32 v21, v5, v21
	v_sub_f32_e32 v26, v22, v26
	v_sub_f32_e32 v27, v23, v27
	;; [unrolled: 1-line block ×3, first 2 shown]
	ds_write2_b64 v30, v[10:11], v[16:17] offset1:13
	ds_write2_b64 v30, v[18:19], v[0:1] offset0:26 offset1:39
	v_mad_u32_u24 v30, v77, s7, 0
	v_lshlrev_b32_sdwa v31, v74, v78 dst_sel:DWORD dst_unused:UNUSED_PAD src0_sel:DWORD src1_sel:BYTE_0
	v_fma_f32 v2, v2, 2.0, -v6
	v_fma_f32 v3, v3, 2.0, -v7
	;; [unrolled: 1-line block ×8, first 2 shown]
	v_add3_u32 v30, v30, v31, v48
	ds_write2_b64 v30, v[2:3], v[4:5] offset1:13
	ds_write2_b64 v30, v[6:7], v[20:21] offset0:26 offset1:39
	s_and_saveexec_b64 s[4:5], vcc
	s_cbranch_execz .LBB0_16
; %bb.15:
	v_mul_lo_u16_sdwa v30, v38, s6 dst_sel:DWORD dst_unused:UNUSED_PAD src0_sel:BYTE_0 src1_sel:DWORD
	v_lshrrev_b16_e32 v30, 10, v30
	v_mad_u32_u24 v30, v30, s7, 0
	v_lshlrev_b32_e32 v31, 3, v49
	v_add3_u32 v30, v30, v31, v48
	ds_write2_b64 v30, v[22:23], v[24:25] offset1:13
	ds_write2_b64 v30, v[26:27], v[28:29] offset0:26 offset1:39
.LBB0_16:
	s_or_b64 exec, exec, s[4:5]
	v_cmp_gt_u32_e32 vcc, 52, v36
	s_waitcnt lgkmcnt(0)
	s_barrier
	s_and_saveexec_b64 s[4:5], vcc
	s_cbranch_execz .LBB0_18
; %bb.17:
	ds_read_b64 v[42:43], v45
	ds_read2_b64 v[12:15], v40 offset0:52 offset1:104
	ds_read2_b64 v[8:11], v40 offset0:156 offset1:208
	v_add_u32_e32 v0, 0x800, v40
	v_add_u32_e32 v4, 0xc00, v40
	;; [unrolled: 1-line block ×4, first 2 shown]
	ds_read2_b64 v[16:19], v0 offset0:4 offset1:56
	ds_read2_b64 v[0:3], v0 offset0:108 offset1:160
	;; [unrolled: 1-line block ×6, first 2 shown]
.LBB0_18:
	s_or_b64 exec, exec, s[4:5]
	s_waitcnt lgkmcnt(0)
	s_barrier
	s_and_saveexec_b64 s[4:5], vcc
	s_cbranch_execz .LBB0_20
; %bb.19:
	v_lshlrev_b32_e32 v48, 4, v36
	v_add_u32_e32 v49, 0xfffffcc0, v48
	v_cndmask_b32_e32 v48, v49, v48, vcc
	v_mov_b32_e32 v49, 0
	v_lshlrev_b64 v[48:49], 3, v[48:49]
	v_mov_b32_e32 v50, s13
	v_add_co_u32_e32 v48, vcc, s12, v48
	v_addc_co_u32_e32 v49, vcc, v50, v49, vcc
	global_load_dwordx4 v[62:65], v[48:49], off offset:424
	global_load_dwordx4 v[66:69], v[48:49], off offset:312
	;; [unrolled: 1-line block ×8, first 2 shown]
	s_mov_b32 s16, 0x3ee437d1
	s_mov_b32 s9, 0xbf1a4643
	s_mov_b32 s6, 0xbf7ba420
	s_mov_b32 s15, 0xbe8c1d8e
	s_mov_b32 s14, 0x3f3d2fb0
	s_mov_b32 s8, 0x3f6eb680
	s_mov_b32 s17, 0x3dbcf732
	s_mov_b32 s7, 0xbf59a7d5
	s_waitcnt vmcnt(7)
	v_mul_f32_e32 v48, v30, v65
	s_waitcnt vmcnt(6)
	v_mul_f32_e32 v49, v12, v67
	;; [unrolled: 2-line block ×3, first 2 shown]
	v_mul_f32_e32 v71, v25, v71
	v_fma_f32 v24, v24, v70, -v71
	v_mul_f32_e32 v51, v14, v69
	s_waitcnt vmcnt(1)
	v_mul_f32_e32 v71, v0, v87
	v_mul_f32_e32 v60, v15, v69
	;; [unrolled: 1-line block ×3, first 2 shown]
	v_fmac_f32_e32 v71, v1, v86
	v_mul_f32_e32 v1, v1, v87
	v_mul_f32_e32 v59, v13, v67
	;; [unrolled: 1-line block ×6, first 2 shown]
	v_fmac_f32_e32 v49, v13, v66
	v_fmac_f32_e32 v48, v31, v64
	v_fma_f32 v26, v26, v72, -v69
	v_fma_f32 v69, v0, v86, -v1
	v_mul_f32_e32 v1, v3, v89
	v_mul_f32_e32 v65, v31, v65
	;; [unrolled: 1-line block ×10, first 2 shown]
	v_fmac_f32_e32 v51, v15, v68
	v_fmac_f32_e32 v50, v29, v62
	;; [unrolled: 1-line block ×4, first 2 shown]
	v_fma_f32 v27, v8, v74, -v67
	s_waitcnt vmcnt(0)
	v_mul_f32_e32 v74, v4, v100
	v_fma_f32 v72, v2, v88, -v1
	v_mul_f32_e32 v1, v5, v100
	v_sub_f32_e32 v83, v49, v48
	v_mul_f32_e32 v63, v29, v63
	v_fma_f32 v59, v12, v66, -v59
	v_fma_f32 v30, v30, v64, -v65
	v_fmac_f32_e32 v54, v25, v70
	v_fma_f32 v25, v10, v76, -v73
	v_fmac_f32_e32 v61, v19, v84
	;; [unrolled: 2-line block ×3, first 2 shown]
	v_fma_f32 v73, v4, v99, -v1
	v_mul_f32_e32 v99, 0xbf65296c, v83
	v_sub_f32_e32 v84, v51, v50
	v_mul_f32_e32 v58, v20, v79
	v_mul_f32_e32 v79, v21, v79
	v_fma_f32 v60, v14, v68, -v60
	v_fma_f32 v28, v28, v62, -v63
	v_add_f32_e32 v19, v59, v30
	v_mov_b32_e32 v1, v99
	v_mul_f32_e32 v100, 0xbf4c4adb, v84
	v_fmac_f32_e32 v56, v23, v80
	v_fma_f32 v23, v16, v82, -v75
	v_fma_f32 v66, v20, v78, -v79
	v_mul_f32_e32 v70, v6, v102
	v_mul_f32_e32 v0, v7, v102
	v_mul_f32_e32 v75, v2, v89
	v_fmac_f32_e32 v1, 0x3ee437d1, v19
	v_add_f32_e32 v20, v60, v28
	v_mov_b32_e32 v2, v100
	v_sub_f32_e32 v85, v53, v52
	v_fmac_f32_e32 v55, v11, v76
	v_add_f32_e32 v12, v49, v48
	v_fmac_f32_e32 v70, v7, v101
	v_fma_f32 v68, v6, v101, -v0
	v_add_f32_e32 v1, v42, v1
	v_fmac_f32_e32 v2, 0xbf1a4643, v20
	v_mul_f32_e32 v101, 0x3e3c28d5, v85
	v_fmac_f32_e32 v58, v21, v78
	v_add_f32_e32 v13, v51, v50
	v_mul_f32_e32 v97, 0x3ee437d1, v12
	v_add_f32_e32 v1, v2, v1
	v_add_f32_e32 v21, v27, v26
	v_mov_b32_e32 v2, v101
	v_sub_f32_e32 v86, v55, v54
	v_fmac_f32_e32 v57, v17, v82
	v_fma_f32 v22, v22, v80, -v77
	v_sub_f32_e32 v80, v59, v30
	v_add_f32_e32 v14, v53, v52
	v_mul_f32_e32 v96, 0xbf1a4643, v13
	v_mov_b32_e32 v8, v97
	v_fmac_f32_e32 v2, 0xbf7ba420, v21
	v_mul_f32_e32 v102, 0x3f763a35, v86
	v_sub_f32_e32 v79, v60, v28
	v_add_f32_e32 v15, v55, v54
	v_mul_f32_e32 v95, 0xbf7ba420, v14
	v_mov_b32_e32 v9, v96
	v_fmac_f32_e32 v8, 0x3f65296c, v80
	v_add_f32_e32 v1, v2, v1
	v_add_f32_e32 v31, v25, v24
	v_mov_b32_e32 v2, v102
	v_sub_f32_e32 v87, v57, v56
	v_sub_f32_e32 v78, v27, v26
	v_add_f32_e32 v16, v57, v56
	v_mul_f32_e32 v94, 0xbe8c1d8e, v15
	v_mov_b32_e32 v10, v95
	v_fmac_f32_e32 v9, 0x3f4c4adb, v79
	v_add_f32_e32 v8, v43, v8
	v_fmac_f32_e32 v2, 0xbe8c1d8e, v31
	v_mul_f32_e32 v103, 0x3f2c7751, v87
	v_sub_f32_e32 v77, v25, v24
	v_mul_f32_e32 v93, 0x3f3d2fb0, v16
	v_mov_b32_e32 v11, v94
	v_fmac_f32_e32 v10, 0xbe3c28d5, v78
	v_add_f32_e32 v8, v9, v8
	v_fmac_f32_e32 v75, v3, v88
	v_add_f32_e32 v1, v2, v1
	v_add_f32_e32 v62, v23, v22
	v_mov_b32_e32 v2, v103
	v_sub_f32_e32 v88, v61, v58
	v_sub_f32_e32 v76, v23, v22
	v_mov_b32_e32 v18, v93
	v_fmac_f32_e32 v11, 0xbf763a35, v77
	v_add_f32_e32 v8, v10, v8
	v_fmac_f32_e32 v2, 0x3f3d2fb0, v62
	v_mul_f32_e32 v104, 0xbeb8f4ab, v88
	v_add_f32_e32 v17, v61, v58
	v_fmac_f32_e32 v18, 0xbf2c7751, v76
	v_add_f32_e32 v8, v11, v8
	v_add_f32_e32 v1, v2, v1
	;; [unrolled: 1-line block ×3, first 2 shown]
	v_mov_b32_e32 v2, v104
	v_sub_f32_e32 v89, v71, v70
	v_mul_f32_e32 v92, 0x3f6eb680, v17
	v_add_f32_e32 v8, v18, v8
	v_add_f32_e32 v18, v71, v70
	v_fmac_f32_e32 v2, 0x3f6eb680, v63
	v_mul_f32_e32 v105, 0xbf7ee86f, v89
	v_sub_f32_e32 v81, v29, v66
	v_mov_b32_e32 v9, v92
	v_mul_f32_e32 v98, 0x3dbcf732, v18
	v_add_f32_e32 v1, v2, v1
	v_add_f32_e32 v64, v69, v68
	v_mov_b32_e32 v2, v105
	v_add_f32_e32 v67, v75, v74
	v_fmac_f32_e32 v9, 0x3eb8f4ab, v81
	v_sub_f32_e32 v82, v69, v68
	v_mov_b32_e32 v0, v98
	v_fmac_f32_e32 v2, 0x3dbcf732, v64
	v_mul_f32_e32 v106, 0xbf59a7d5, v67
	v_add_f32_e32 v8, v9, v8
	v_fmac_f32_e32 v0, 0x3f7ee86f, v82
	v_add_f32_e32 v2, v2, v1
	v_sub_f32_e32 v90, v72, v73
	v_mov_b32_e32 v1, v106
	v_sub_f32_e32 v91, v75, v74
	v_add_f32_e32 v0, v0, v8
	v_fmac_f32_e32 v1, 0x3f06c442, v90
	v_mul_f32_e32 v107, 0xbf06c442, v91
	v_add_f32_e32 v1, v1, v0
	v_add_f32_e32 v65, v72, v73
	v_mov_b32_e32 v0, v107
	v_fmac_f32_e32 v0, 0xbf59a7d5, v65
	v_mul_f32_e32 v114, 0x3dbcf732, v12
	v_add_f32_e32 v0, v0, v2
	v_mov_b32_e32 v2, v114
	v_mul_f32_e32 v115, 0xbf7ba420, v13
	v_fmac_f32_e32 v2, 0x3f7ee86f, v80
	v_mov_b32_e32 v3, v115
	v_add_f32_e32 v2, v43, v2
	v_fmac_f32_e32 v3, 0x3e3c28d5, v79
	v_mul_f32_e32 v116, 0xbe8c1d8e, v14
	v_add_f32_e32 v2, v3, v2
	v_mov_b32_e32 v3, v116
	v_fmac_f32_e32 v3, 0xbf763a35, v78
	v_mul_f32_e32 v117, 0x3f6eb680, v15
	v_add_f32_e32 v2, v3, v2
	v_mov_b32_e32 v3, v117
	;; [unrolled: 4-line block ×6, first 2 shown]
	v_mul_f32_e32 v122, 0xbe3c28d5, v84
	v_fmac_f32_e32 v3, 0x3dbcf732, v19
	v_mov_b32_e32 v4, v122
	v_add_f32_e32 v3, v42, v3
	v_fmac_f32_e32 v4, 0xbf7ba420, v20
	v_mul_f32_e32 v123, 0x3f763a35, v85
	v_add_f32_e32 v3, v4, v3
	v_mov_b32_e32 v4, v123
	v_fmac_f32_e32 v4, 0xbe8c1d8e, v21
	v_mul_f32_e32 v124, 0x3eb8f4ab, v86
	v_add_f32_e32 v3, v4, v3
	v_mov_b32_e32 v4, v124
	;; [unrolled: 4-line block ×8, first 2 shown]
	v_mul_f32_e32 v113, 0xbf59a7d5, v13
	v_fmac_f32_e32 v4, 0x3f763a35, v80
	v_mov_b32_e32 v5, v113
	v_add_f32_e32 v4, v43, v4
	v_fmac_f32_e32 v5, 0xbf06c442, v79
	v_mul_f32_e32 v130, 0x3f3d2fb0, v14
	v_add_f32_e32 v4, v5, v4
	v_mov_b32_e32 v5, v130
	v_fmac_f32_e32 v5, 0xbf2c7751, v78
	v_mul_f32_e32 v131, 0x3ee437d1, v15
	v_add_f32_e32 v4, v5, v4
	v_mov_b32_e32 v5, v131
	;; [unrolled: 4-line block ×6, first 2 shown]
	v_mul_f32_e32 v136, 0x3f06c442, v84
	v_fmac_f32_e32 v5, 0xbe8c1d8e, v19
	v_mov_b32_e32 v6, v136
	v_add_f32_e32 v5, v42, v5
	v_fmac_f32_e32 v6, 0xbf59a7d5, v20
	v_mul_f32_e32 v137, 0x3f2c7751, v85
	v_add_f32_e32 v5, v6, v5
	v_mov_b32_e32 v6, v137
	v_fmac_f32_e32 v6, 0x3f3d2fb0, v21
	v_mul_f32_e32 v138, 0xbf65296c, v86
	v_add_f32_e32 v5, v6, v5
	v_mov_b32_e32 v6, v138
	;; [unrolled: 4-line block ×8, first 2 shown]
	v_mul_f32_e32 v109, 0x3ee437d1, v13
	v_fmac_f32_e32 v6, 0x3f06c442, v80
	v_mov_b32_e32 v7, v109
	v_add_f32_e32 v6, v43, v6
	v_fmac_f32_e32 v7, 0xbf65296c, v79
	v_mul_f32_e32 v110, 0x3dbcf732, v14
	v_add_f32_e32 v6, v7, v6
	v_mov_b32_e32 v7, v110
	v_fmac_f32_e32 v7, 0x3f7ee86f, v78
	v_mul_f32_e32 v111, 0xbf1a4643, v15
	v_add_f32_e32 v6, v7, v6
	v_mov_b32_e32 v7, v111
	;; [unrolled: 4-line block ×6, first 2 shown]
	v_mul_f32_e32 v148, 0x3f65296c, v84
	v_fmac_f32_e32 v7, 0xbf59a7d5, v19
	v_mov_b32_e32 v8, v148
	v_add_f32_e32 v7, v42, v7
	v_fmac_f32_e32 v8, 0x3ee437d1, v20
	v_mul_f32_e32 v149, 0xbf7ee86f, v85
	v_add_f32_e32 v7, v8, v7
	v_mov_b32_e32 v8, v149
	v_fmac_f32_e32 v8, 0x3dbcf732, v21
	v_mul_f32_e32 v150, 0x3f4c4adb, v86
	v_fmac_f32_e32 v97, 0xbf65296c, v80
	v_add_f32_e32 v7, v8, v7
	v_mov_b32_e32 v8, v150
	v_add_f32_e32 v97, v43, v97
	v_fmac_f32_e32 v96, 0xbf4c4adb, v79
	v_fmac_f32_e32 v8, 0xbf1a4643, v31
	v_mul_f32_e32 v151, 0xbeb8f4ab, v87
	v_add_f32_e32 v96, v96, v97
	v_fmac_f32_e32 v95, 0x3e3c28d5, v78
	v_add_f32_e32 v7, v8, v7
	v_mov_b32_e32 v8, v151
	v_add_f32_e32 v95, v95, v96
	v_fmac_f32_e32 v94, 0x3f763a35, v77
	v_fmac_f32_e32 v8, 0x3f6eb680, v62
	v_mul_f32_e32 v152, 0xbe3c28d5, v88
	v_add_f32_e32 v94, v94, v95
	;; [unrolled: 8-line block ×3, first 2 shown]
	v_fma_f32 v93, v19, s16, -v99
	v_add_f32_e32 v7, v8, v7
	v_mov_b32_e32 v8, v153
	v_add_f32_e32 v93, v42, v93
	v_fma_f32 v94, v20, s9, -v100
	v_fmac_f32_e32 v8, 0x3f3d2fb0, v64
	v_mul_f32_e32 v154, 0xbe8c1d8e, v67
	v_add_f32_e32 v93, v94, v93
	v_fma_f32 v94, v21, s6, -v101
	v_add_f32_e32 v8, v8, v7
	v_mov_b32_e32 v7, v154
	v_add_f32_e32 v93, v94, v93
	v_fma_f32 v94, v31, s15, -v102
	v_fmac_f32_e32 v7, 0x3f763a35, v90
	v_mul_f32_e32 v155, 0xbf763a35, v91
	v_add_f32_e32 v93, v94, v93
	v_fma_f32 v94, v62, s14, -v103
	v_add_f32_e32 v7, v7, v6
	v_mov_b32_e32 v6, v155
	v_fmac_f32_e32 v98, 0xbf7ee86f, v82
	v_add_f32_e32 v93, v94, v93
	v_fma_f32 v94, v63, s8, -v104
	v_fmac_f32_e32 v6, 0xbe8c1d8e, v65
	v_mul_f32_e32 v10, 0xbf7ba420, v12
	v_add_f32_e32 v92, v98, v92
	v_add_f32_e32 v93, v94, v93
	v_fma_f32 v94, v64, s17, -v105
	v_fmac_f32_e32 v106, 0xbf06c442, v90
	v_add_f32_e32 v6, v6, v8
	v_mov_b32_e32 v8, v10
	v_mul_f32_e32 v11, 0x3f6eb680, v13
	v_add_f32_e32 v94, v94, v93
	v_add_f32_e32 v93, v106, v92
	v_fma_f32 v92, v65, s7, -v107
	v_mul_f32_e32 v96, 0xbf2c7751, v80
	v_fmac_f32_e32 v8, 0x3e3c28d5, v80
	v_mov_b32_e32 v9, v11
	v_add_f32_e32 v92, v92, v94
	v_mov_b32_e32 v94, v96
	v_mul_f32_e32 v97, 0xbf7ee86f, v79
	v_add_f32_e32 v49, v43, v49
	v_add_f32_e32 v8, v43, v8
	v_fmac_f32_e32 v9, 0xbeb8f4ab, v79
	v_mul_f32_e32 v156, 0xbf59a7d5, v14
	v_fmac_f32_e32 v94, 0x3f3d2fb0, v12
	v_mov_b32_e32 v95, v97
	v_add_f32_e32 v49, v49, v51
	v_add_f32_e32 v8, v9, v8
	v_mov_b32_e32 v9, v156
	v_fmac_f32_e32 v108, 0xbf06c442, v80
	v_add_f32_e32 v94, v43, v94
	v_fmac_f32_e32 v95, 0x3dbcf732, v13
	v_mul_f32_e32 v98, 0xbf4c4adb, v78
	v_add_f32_e32 v49, v49, v53
	v_fmac_f32_e32 v9, 0x3f06c442, v78
	v_mul_f32_e32 v157, 0x3f3d2fb0, v15
	v_add_f32_e32 v108, v43, v108
	v_fmac_f32_e32 v109, 0x3f65296c, v79
	v_add_f32_e32 v94, v95, v94
	v_mov_b32_e32 v95, v98
	v_add_f32_e32 v49, v49, v55
	v_add_f32_e32 v8, v9, v8
	v_mov_b32_e32 v9, v157
	v_add_f32_e32 v108, v109, v108
	v_fmac_f32_e32 v110, 0xbf7ee86f, v78
	v_fma_f32 v109, v19, s7, -v147
	v_fmac_f32_e32 v95, 0xbf1a4643, v14
	v_mul_f32_e32 v99, 0xbe3c28d5, v77
	v_add_f32_e32 v49, v49, v57
	v_fmac_f32_e32 v9, 0xbf2c7751, v77
	v_mul_f32_e32 v158, 0xbf1a4643, v16
	v_add_f32_e32 v108, v110, v108
	v_add_f32_e32 v109, v42, v109
	v_fma_f32 v110, v20, s16, -v148
	v_add_f32_e32 v94, v95, v94
	v_mov_b32_e32 v95, v99
	v_add_f32_e32 v49, v49, v61
	v_add_f32_e32 v8, v9, v8
	v_mov_b32_e32 v9, v158
	v_fmac_f32_e32 v111, 0x3f4c4adb, v77
	v_add_f32_e32 v109, v110, v109
	v_fma_f32 v110, v21, s17, -v149
	v_fmac_f32_e32 v95, 0xbf7ba420, v15
	v_mul_f32_e32 v100, 0x3f06c442, v76
	v_add_f32_e32 v49, v49, v71
	v_fmac_f32_e32 v9, 0x3f4c4adb, v76
	v_mul_f32_e32 v159, 0x3ee437d1, v17
	v_add_f32_e32 v108, v111, v108
	v_fmac_f32_e32 v144, 0xbeb8f4ab, v76
	v_add_f32_e32 v109, v110, v109
	v_fma_f32 v110, v31, s9, -v150
	v_add_f32_e32 v94, v95, v94
	v_mov_b32_e32 v95, v100
	v_add_f32_e32 v49, v49, v75
	v_add_f32_e32 v8, v9, v8
	v_mov_b32_e32 v9, v159
	v_add_f32_e32 v108, v144, v108
	v_fmac_f32_e32 v145, 0xbe3c28d5, v81
	v_add_f32_e32 v109, v110, v109
	v_fma_f32 v110, v62, s8, -v151
	v_fmac_f32_e32 v95, 0xbf59a7d5, v16
	v_mul_f32_e32 v101, 0x3f763a35, v81
	v_add_f32_e32 v49, v49, v74
	v_fmac_f32_e32 v9, 0xbf65296c, v81
	v_mul_f32_e32 v160, 0xbe8c1d8e, v18
	v_add_f32_e32 v108, v145, v108
	v_fmac_f32_e32 v146, 0x3f2c7751, v82
	v_add_f32_e32 v109, v110, v109
	v_fma_f32 v110, v63, s6, -v152
	v_add_f32_e32 v94, v95, v94
	v_mov_b32_e32 v95, v101
	v_add_f32_e32 v49, v49, v70
	v_add_f32_e32 v8, v9, v8
	v_mov_b32_e32 v9, v160
	v_add_f32_e32 v108, v146, v108
	v_add_f32_e32 v109, v110, v109
	v_fma_f32 v110, v64, s14, -v153
	v_fmac_f32_e32 v154, 0xbf763a35, v90
	v_fmac_f32_e32 v114, 0xbf7ee86f, v80
	;; [unrolled: 1-line block ×3, first 2 shown]
	v_mul_f32_e32 v102, 0x3f65296c, v82
	v_add_f32_e32 v49, v49, v58
	v_fmac_f32_e32 v9, 0x3f763a35, v82
	v_mul_f32_e32 v161, 0xbe3c28d5, v83
	v_add_f32_e32 v110, v110, v109
	v_add_f32_e32 v109, v154, v108
	v_fma_f32 v108, v65, s15, -v155
	v_mul_f32_e32 v144, 0xbf4c4adb, v80
	v_add_f32_e32 v114, v43, v114
	v_fmac_f32_e32 v115, 0xbe3c28d5, v79
	v_add_f32_e32 v94, v95, v94
	v_mov_b32_e32 v95, v102
	v_add_f32_e32 v49, v49, v56
	v_add_f32_e32 v8, v9, v8
	v_mov_b32_e32 v9, v161
	v_mul_f32_e32 v162, 0x3eb8f4ab, v84
	v_add_f32_e32 v108, v108, v110
	v_mov_b32_e32 v110, v144
	v_mul_f32_e32 v145, 0x3f763a35, v79
	v_add_f32_e32 v114, v115, v114
	v_fmac_f32_e32 v116, 0x3f763a35, v78
	v_fma_f32 v115, v19, s17, -v121
	v_fmac_f32_e32 v95, 0x3ee437d1, v18
	v_mul_f32_e32 v103, 0xbf2c7751, v83
	v_add_f32_e32 v49, v49, v54
	v_fmac_f32_e32 v9, 0xbf7ba420, v19
	v_mov_b32_e32 v163, v162
	v_fmac_f32_e32 v110, 0xbf1a4643, v12
	v_mov_b32_e32 v111, v145
	v_add_f32_e32 v114, v116, v114
	v_add_f32_e32 v115, v42, v115
	v_fma_f32 v116, v20, s6, -v122
	v_add_f32_e32 v94, v95, v94
	v_fma_f32 v95, v19, s14, -v103
	v_mul_f32_e32 v104, 0xbf7ee86f, v84
	v_add_f32_e32 v49, v49, v52
	v_add_f32_e32 v9, v42, v9
	v_fmac_f32_e32 v163, 0x3f6eb680, v20
	v_add_f32_e32 v110, v43, v110
	v_fmac_f32_e32 v111, 0xbe8c1d8e, v13
	v_mul_f32_e32 v146, 0xbeb8f4ab, v78
	v_fmac_f32_e32 v117, 0x3eb8f4ab, v77
	v_add_f32_e32 v115, v116, v115
	v_fma_f32 v116, v21, s15, -v123
	v_add_f32_e32 v95, v42, v95
	v_fma_f32 v105, v20, s17, -v104
	v_add_f32_e32 v49, v49, v50
	v_add_f32_e32 v50, v42, v59
	;; [unrolled: 1-line block ×3, first 2 shown]
	v_mul_f32_e32 v163, 0xbf06c442, v85
	v_add_f32_e32 v110, v111, v110
	v_mov_b32_e32 v111, v146
	v_add_f32_e32 v114, v117, v114
	v_fmac_f32_e32 v118, 0xbf65296c, v76
	v_add_f32_e32 v115, v116, v115
	v_fma_f32 v116, v31, s8, -v124
	v_add_f32_e32 v95, v105, v95
	v_mul_f32_e32 v105, 0xbf4c4adb, v85
	v_add_f32_e32 v50, v50, v60
	v_mov_b32_e32 v164, v163
	v_fmac_f32_e32 v111, 0x3f6eb680, v14
	v_mul_f32_e32 v147, 0xbf06c442, v77
	v_add_f32_e32 v114, v118, v114
	v_fmac_f32_e32 v119, 0xbf06c442, v81
	v_add_f32_e32 v115, v116, v115
	v_fma_f32 v116, v62, s16, -v125
	v_fma_f32 v106, v21, s9, -v105
	v_add_f32_e32 v27, v50, v27
	v_fmac_f32_e32 v164, 0xbf59a7d5, v21
	v_add_f32_e32 v110, v111, v110
	v_mov_b32_e32 v111, v147
	v_add_f32_e32 v114, v119, v114
	v_fmac_f32_e32 v120, 0x3f4c4adb, v82
	v_add_f32_e32 v115, v116, v115
	v_fma_f32 v116, v63, s7, -v126
	v_add_f32_e32 v95, v106, v95
	v_mul_f32_e32 v106, 0xbe3c28d5, v86
	v_add_f32_e32 v25, v27, v25
	v_add_f32_e32 v9, v164, v9
	v_mul_f32_e32 v164, 0x3f2c7751, v86
	v_fmac_f32_e32 v111, 0xbf59a7d5, v15
	v_mul_f32_e32 v148, 0x3f7ee86f, v76
	v_add_f32_e32 v114, v120, v114
	v_add_f32_e32 v115, v116, v115
	v_fma_f32 v116, v64, s9, -v127
	v_fmac_f32_e32 v128, 0x3f2c7751, v90
	v_fma_f32 v107, v31, s6, -v106
	v_add_f32_e32 v23, v25, v23
	v_mov_b32_e32 v165, v164
	v_add_f32_e32 v110, v111, v110
	v_mov_b32_e32 v111, v148
	v_add_f32_e32 v116, v116, v115
	v_add_f32_e32 v115, v128, v114
	v_fma_f32 v114, v65, s14, -v129
	v_add_f32_e32 v95, v107, v95
	v_mul_f32_e32 v107, 0x3f06c442, v87
	v_add_f32_e32 v23, v23, v29
	v_fmac_f32_e32 v165, 0x3f3d2fb0, v31
	v_fmac_f32_e32 v111, 0x3dbcf732, v16
	v_mul_f32_e32 v149, 0xbf2c7751, v81
	v_add_f32_e32 v114, v114, v116
	v_fma_f32 v116, v62, s7, -v107
	v_add_f32_e32 v23, v23, v69
	v_add_f32_e32 v9, v165, v9
	v_mul_f32_e32 v165, 0xbf4c4adb, v87
	v_add_f32_e32 v110, v111, v110
	v_mov_b32_e32 v111, v149
	v_add_f32_e32 v95, v116, v95
	v_mul_f32_e32 v116, 0x3f763a35, v88
	v_add_f32_e32 v23, v23, v72
	v_mov_b32_e32 v166, v165
	v_fmac_f32_e32 v10, 0xbe3c28d5, v80
	v_fmac_f32_e32 v111, 0x3f3d2fb0, v17
	v_mul_f32_e32 v150, 0xbe3c28d5, v82
	v_fma_f32 v117, v63, s15, -v116
	v_add_f32_e32 v23, v23, v73
	v_fmac_f32_e32 v166, 0xbf1a4643, v62
	v_add_f32_e32 v10, v43, v10
	v_fmac_f32_e32 v11, 0x3eb8f4ab, v79
	v_add_f32_e32 v110, v111, v110
	v_mov_b32_e32 v111, v150
	v_add_f32_e32 v95, v117, v95
	v_mul_f32_e32 v117, 0x3f65296c, v89
	v_add_f32_e32 v23, v23, v68
	v_add_f32_e32 v9, v166, v9
	v_mul_f32_e32 v166, 0x3f65296c, v88
	v_add_f32_e32 v10, v11, v10
	v_fmac_f32_e32 v156, 0xbf06c442, v78
	v_fma_f32 v11, v19, s6, -v161
	v_fmac_f32_e32 v111, 0xbf7ba420, v18
	v_mul_f32_e32 v151, 0xbf4c4adb, v83
	v_fma_f32 v118, v64, s16, -v117
	v_mul_f32_e32 v119, 0x3eb8f4ab, v90
	v_add_f32_e32 v23, v23, v66
	v_mov_b32_e32 v167, v166
	v_add_f32_e32 v10, v156, v10
	v_add_f32_e32 v11, v42, v11
	v_fma_f32 v156, v20, s8, -v162
	v_add_f32_e32 v110, v111, v110
	v_fma_f32 v111, v19, s9, -v151
	v_mul_f32_e32 v152, 0x3f763a35, v84
	v_add_f32_e32 v118, v118, v95
	v_mov_b32_e32 v95, v119
	v_add_f32_e32 v22, v23, v22
	v_fmac_f32_e32 v167, 0x3ee437d1, v63
	v_fmac_f32_e32 v157, 0x3f2c7751, v77
	v_add_f32_e32 v11, v156, v11
	v_fma_f32 v156, v21, s7, -v163
	v_add_f32_e32 v111, v42, v111
	v_fma_f32 v153, v20, s15, -v152
	v_fmac_f32_e32 v95, 0x3f6eb680, v67
	v_mul_f32_e32 v120, 0x3eb8f4ab, v91
	v_add_f32_e32 v22, v22, v24
	v_fma_f32 v24, v12, s9, -v144
	v_add_f32_e32 v9, v167, v9
	v_mul_f32_e32 v167, 0xbf763a35, v89
	v_add_f32_e32 v10, v157, v10
	v_fmac_f32_e32 v158, 0xbf4c4adb, v76
	v_add_f32_e32 v11, v156, v11
	v_fma_f32 v156, v31, s14, -v164
	v_add_f32_e32 v111, v153, v111
	v_mul_f32_e32 v153, 0xbeb8f4ab, v85
	v_fmac_f32_e32 v112, 0xbf763a35, v80
	v_add_f32_e32 v95, v95, v94
	v_fma_f32 v94, v65, s8, -v120
	v_mul_f32_e32 v80, 0xbeb8f4ab, v80
	v_add_f32_e32 v24, v43, v24
	v_fma_f32 v25, v13, s15, -v145
	v_mov_b32_e32 v168, v167
	v_add_f32_e32 v10, v158, v10
	v_fmac_f32_e32 v159, 0x3f65296c, v81
	v_add_f32_e32 v11, v156, v11
	v_fma_f32 v156, v62, s9, -v165
	v_fma_f32 v154, v21, s8, -v153
	v_fmac_f32_e32 v113, 0x3f06c442, v79
	v_add_f32_e32 v94, v94, v118
	v_mov_b32_e32 v118, v80
	v_mul_f32_e32 v79, 0xbf2c7751, v79
	v_add_f32_e32 v24, v25, v24
	v_fma_f32 v25, v14, s8, -v146
	v_fmac_f32_e32 v168, 0xbe8c1d8e, v64
	v_mul_f32_e32 v169, 0x3dbcf732, v67
	v_add_f32_e32 v10, v159, v10
	v_fmac_f32_e32 v160, 0xbf763a35, v82
	v_add_f32_e32 v11, v156, v11
	v_fma_f32 v156, v63, s16, -v166
	v_add_f32_e32 v111, v154, v111
	v_mul_f32_e32 v154, 0xbf06c442, v86
	v_fmac_f32_e32 v118, 0x3f6eb680, v12
	v_mov_b32_e32 v121, v79
	v_add_f32_e32 v24, v25, v24
	v_fma_f32 v25, v15, s7, -v147
	v_add_f32_e32 v168, v168, v9
	v_mov_b32_e32 v9, v169
	v_mul_f32_e32 v170, 0x3f7ee86f, v91
	v_add_f32_e32 v10, v160, v10
	v_add_f32_e32 v11, v156, v11
	v_fma_f32 v156, v64, s15, -v167
	v_fmac_f32_e32 v169, 0x3f7ee86f, v90
	v_fma_f32 v155, v31, s7, -v154
	v_fmac_f32_e32 v130, 0x3f2c7751, v78
	v_add_f32_e32 v118, v43, v118
	v_fmac_f32_e32 v121, 0x3f3d2fb0, v13
	v_mul_f32_e32 v78, 0xbf65296c, v78
	v_add_f32_e32 v24, v25, v24
	v_fma_f32 v25, v16, s17, -v148
	v_add_f32_e32 v156, v156, v11
	v_add_f32_e32 v11, v169, v10
	v_fma_f32 v10, v65, s17, -v170
	v_add_f32_e32 v111, v155, v111
	v_mul_f32_e32 v155, 0x3f7ee86f, v87
	v_add_f32_e32 v118, v121, v118
	v_mov_b32_e32 v121, v78
	v_add_f32_e32 v24, v25, v24
	v_fma_f32 v25, v17, s14, -v149
	v_add_f32_e32 v10, v10, v156
	v_fma_f32 v156, v62, s17, -v155
	v_fmac_f32_e32 v121, 0x3ee437d1, v14
	v_add_f32_e32 v24, v25, v24
	v_fma_f32 v25, v18, s6, -v150
	v_fmac_f32_e32 v151, 0xbf1a4643, v19
	v_add_f32_e32 v111, v156, v111
	v_mul_f32_e32 v156, 0xbf2c7751, v88
	v_add_f32_e32 v118, v121, v118
	v_mul_f32_e32 v121, 0xbf7ee86f, v77
	v_add_f32_e32 v24, v25, v24
	v_add_f32_e32 v25, v42, v151
	v_fmac_f32_e32 v152, 0xbe8c1d8e, v20
	v_fma_f32 v157, v63, s14, -v156
	v_fmac_f32_e32 v131, 0xbf65296c, v77
	v_mov_b32_e32 v77, v121
	v_add_f32_e32 v25, v152, v25
	v_fmac_f32_e32 v153, 0x3f6eb680, v21
	v_add_f32_e32 v111, v157, v111
	v_mul_f32_e32 v157, 0xbe3c28d5, v89
	v_fmac_f32_e32 v77, 0x3dbcf732, v15
	v_add_f32_e32 v25, v153, v25
	v_fmac_f32_e32 v154, 0xbf59a7d5, v31
	v_fma_f32 v158, v64, s6, -v157
	v_mul_f32_e32 v159, 0x3f65296c, v90
	v_add_f32_e32 v77, v77, v118
	v_mul_f32_e32 v118, 0xbf763a35, v76
	v_add_f32_e32 v25, v154, v25
	v_fmac_f32_e32 v155, 0x3dbcf732, v62
	v_add_f32_e32 v158, v158, v111
	v_mov_b32_e32 v111, v159
	v_fmac_f32_e32 v132, 0xbe3c28d5, v76
	v_mov_b32_e32 v76, v118
	v_add_f32_e32 v25, v155, v25
	v_fmac_f32_e32 v156, 0x3f3d2fb0, v63
	v_fmac_f32_e32 v111, 0x3ee437d1, v67
	v_mul_f32_e32 v160, 0x3f65296c, v91
	v_fmac_f32_e32 v133, 0x3f7ee86f, v81
	v_fmac_f32_e32 v76, 0xbe8c1d8e, v16
	v_mul_f32_e32 v81, 0xbf4c4adb, v81
	v_add_f32_e32 v25, v156, v25
	v_fmac_f32_e32 v157, 0xbf7ba420, v64
	v_add_f32_e32 v111, v111, v110
	v_fma_f32 v110, v65, s16, -v160
	v_add_f32_e32 v76, v76, v77
	v_mov_b32_e32 v77, v81
	v_add_f32_e32 v22, v22, v26
	v_add_f32_e32 v26, v157, v25
	v_fma_f32 v25, v67, s16, -v159
	v_fmac_f32_e32 v160, 0x3ee437d1, v65
	v_fmac_f32_e32 v134, 0xbeb8f4ab, v82
	v_fmac_f32_e32 v77, 0xbf1a4643, v17
	v_mul_f32_e32 v82, 0xbf06c442, v82
	v_add_f32_e32 v25, v25, v24
	v_add_f32_e32 v24, v160, v26
	v_fma_f32 v26, v12, s14, -v96
	v_fma_f32 v12, v12, s8, -v80
	v_add_f32_e32 v76, v77, v76
	v_mov_b32_e32 v77, v82
	v_add_f32_e32 v26, v43, v26
	v_fma_f32 v27, v13, s17, -v97
	v_add_f32_e32 v12, v43, v12
	v_fma_f32 v13, v13, s14, -v79
	v_fmac_f32_e32 v77, 0xbf59a7d5, v18
	v_mul_f32_e32 v83, 0xbeb8f4ab, v83
	v_add_f32_e32 v26, v27, v26
	v_fma_f32 v27, v14, s9, -v98
	v_add_f32_e32 v12, v13, v12
	v_fma_f32 v13, v14, s16, -v78
	v_add_f32_e32 v112, v43, v112
	v_add_f32_e32 v76, v77, v76
	v_fma_f32 v77, v19, s8, -v83
	v_mul_f32_e32 v84, 0xbf2c7751, v84
	v_add_f32_e32 v26, v27, v26
	v_fma_f32 v27, v15, s6, -v99
	v_add_f32_e32 v12, v13, v12
	v_fma_f32 v13, v15, s17, -v121
	;; [unrolled: 2-line block ×4, first 2 shown]
	v_mul_f32_e32 v85, 0xbf65296c, v85
	v_add_f32_e32 v26, v27, v26
	v_fma_f32 v27, v16, s7, -v100
	v_add_f32_e32 v12, v13, v12
	v_fma_f32 v13, v16, s15, -v118
	v_add_f32_e32 v112, v130, v112
	v_add_f32_e32 v113, v42, v113
	v_fma_f32 v130, v20, s7, -v136
	v_add_f32_e32 v77, v122, v77
	v_fma_f32 v122, v21, s16, -v85
	v_mul_f32_e32 v86, 0xbf7ee86f, v86
	v_add_f32_e32 v26, v27, v26
	v_fma_f32 v27, v17, s15, -v101
	v_add_f32_e32 v12, v13, v12
	v_fma_f32 v13, v17, s9, -v81
	v_fmac_f32_e32 v9, 0xbf7ee86f, v90
	v_add_f32_e32 v113, v130, v113
	v_fma_f32 v130, v21, s14, -v137
	v_fmac_f32_e32 v142, 0xbf4c4adb, v90
	v_add_f32_e32 v77, v122, v77
	v_fma_f32 v122, v31, s17, -v86
	v_mul_f32_e32 v87, 0xbf763a35, v87
	v_mul_f32_e32 v90, 0xbe3c28d5, v90
	v_add_f32_e32 v26, v27, v26
	v_fma_f32 v27, v18, s16, -v102
	v_add_f32_e32 v12, v13, v12
	v_fma_f32 v13, v18, s7, -v82
	v_add_f32_e32 v112, v131, v112
	v_add_f32_e32 v113, v130, v113
	v_fma_f32 v130, v31, s16, -v138
	v_add_f32_e32 v77, v122, v77
	v_fma_f32 v122, v62, s15, -v87
	v_mul_f32_e32 v88, 0xbf4c4adb, v88
	v_add_f32_e32 v26, v27, v26
	v_fma_f32 v27, v67, s8, -v119
	v_fmac_f32_e32 v103, 0x3f3d2fb0, v19
	v_add_f32_e32 v12, v13, v12
	v_fma_f32 v13, v67, s6, -v90
	v_fmac_f32_e32 v83, 0x3f6eb680, v19
	v_add_f32_e32 v112, v132, v112
	v_add_f32_e32 v113, v130, v113
	v_fma_f32 v130, v62, s6, -v139
	v_add_f32_e32 v77, v122, v77
	v_fma_f32 v122, v63, s9, -v88
	v_mul_f32_e32 v89, 0xbf06c442, v89
	v_add_f32_e32 v27, v27, v26
	v_add_f32_e32 v26, v42, v103
	v_fmac_f32_e32 v104, 0x3dbcf732, v20
	v_add_f32_e32 v13, v13, v12
	v_add_f32_e32 v12, v42, v83
	v_fmac_f32_e32 v84, 0x3f3d2fb0, v20
	v_add_f32_e32 v112, v133, v112
	v_add_f32_e32 v113, v130, v113
	v_fma_f32 v130, v63, s17, -v140
	v_add_f32_e32 v77, v122, v77
	v_fma_f32 v122, v64, s7, -v89
	v_add_f32_e32 v26, v104, v26
	v_fmac_f32_e32 v105, 0xbf1a4643, v21
	v_add_f32_e32 v12, v84, v12
	v_fmac_f32_e32 v85, 0x3ee437d1, v21
	v_add_f32_e32 v112, v134, v112
	v_add_f32_e32 v113, v130, v113
	v_fma_f32 v130, v64, s8, -v141
	v_add_f32_e32 v122, v122, v77
	v_mov_b32_e32 v77, v90
	v_add_f32_e32 v26, v105, v26
	v_fmac_f32_e32 v106, 0xbf7ba420, v31
	v_add_f32_e32 v12, v85, v12
	v_fmac_f32_e32 v86, 0x3dbcf732, v31
	v_add_f32_e32 v9, v9, v8
	v_mov_b32_e32 v8, v170
	v_add_f32_e32 v130, v130, v113
	v_add_f32_e32 v113, v142, v112
	v_fma_f32 v112, v65, s9, -v143
	v_fmac_f32_e32 v77, 0xbf7ba420, v67
	v_mul_f32_e32 v91, 0xbe3c28d5, v91
	v_add_f32_e32 v22, v22, v28
	v_add_f32_e32 v26, v106, v26
	v_fmac_f32_e32 v107, 0xbf59a7d5, v62
	v_add_f32_e32 v12, v86, v12
	v_fmac_f32_e32 v87, 0xbe8c1d8e, v62
	v_fmac_f32_e32 v8, 0x3dbcf732, v65
	v_add_f32_e32 v110, v110, v158
	v_add_f32_e32 v112, v112, v130
	;; [unrolled: 1-line block ×3, first 2 shown]
	v_fma_f32 v76, v65, s6, -v91
	v_add_f32_e32 v23, v49, v48
	v_add_f32_e32 v22, v22, v30
	;; [unrolled: 1-line block ×3, first 2 shown]
	v_fmac_f32_e32 v116, 0xbe8c1d8e, v63
	v_add_f32_e32 v12, v87, v12
	v_fmac_f32_e32 v88, 0xbf1a4643, v63
	v_add_u32_e32 v14, 0x800, v40
	v_add_f32_e32 v8, v8, v168
	v_add_f32_e32 v76, v76, v122
	;; [unrolled: 1-line block ×3, first 2 shown]
	v_fmac_f32_e32 v117, 0x3ee437d1, v64
	v_add_f32_e32 v12, v88, v12
	v_fmac_f32_e32 v89, 0xbf59a7d5, v64
	ds_write_b64 v45, v[22:23]
	ds_write2_b64 v40, v[76:77], v[94:95] offset0:52 offset1:104
	ds_write2_b64 v40, v[92:93], v[114:115] offset0:156 offset1:208
	;; [unrolled: 1-line block ×4, first 2 shown]
	v_add_u32_e32 v10, 0xc00, v40
	v_add_f32_e32 v26, v117, v26
	v_fmac_f32_e32 v120, 0x3f6eb680, v65
	v_add_f32_e32 v12, v89, v12
	v_fmac_f32_e32 v91, 0xbf7ba420, v65
	ds_write2_b64 v10, v[8:9], v[6:7] offset0:84 offset1:136
	v_add_u32_e32 v6, 0x1000, v40
	v_add_f32_e32 v26, v120, v26
	v_add_f32_e32 v12, v91, v12
	ds_write2_b64 v6, v[24:25], v[4:5] offset0:60 offset1:112
	ds_write2_b64 v6, v[2:3], v[0:1] offset0:164 offset1:216
	v_add_u32_e32 v0, 0x1800, v40
	ds_write2_b64 v0, v[26:27], v[12:13] offset0:12 offset1:64
.LBB0_20:
	s_or_b64 exec, exec, s[4:5]
	s_waitcnt lgkmcnt(0)
	s_barrier
	ds_read_b64 v[4:5], v45
	s_add_u32 s6, s12, 0x1b38
	s_addc_u32 s7, s13, 0
	v_sub_u32_e32 v6, v44, v37
	v_cmp_ne_u32_e32 vcc, 0, v36
                                        ; implicit-def: $vgpr3
                                        ; implicit-def: $vgpr7
                                        ; implicit-def: $vgpr0_vgpr1
	s_and_saveexec_b64 s[4:5], vcc
	s_xor_b64 s[4:5], exec, s[4:5]
	s_cbranch_execz .LBB0_22
; %bb.21:
	v_mov_b32_e32 v37, 0
	v_lshlrev_b64 v[0:1], 3, v[36:37]
	v_mov_b32_e32 v2, s7
	v_add_co_u32_e32 v0, vcc, s6, v0
	v_addc_co_u32_e32 v1, vcc, v2, v1, vcc
	global_load_dwordx2 v[0:1], v[0:1], off
	ds_read_b64 v[2:3], v6 offset:7072
	s_waitcnt lgkmcnt(0)
	v_add_f32_e32 v8, v2, v4
	v_sub_f32_e32 v2, v4, v2
	v_add_f32_e32 v7, v3, v5
	v_sub_f32_e32 v3, v5, v3
	v_mul_f32_e32 v2, 0.5, v2
	v_mul_f32_e32 v4, 0.5, v7
	;; [unrolled: 1-line block ×3, first 2 shown]
	s_waitcnt vmcnt(0)
	v_mul_f32_e32 v5, v1, v2
	v_fma_f32 v7, v4, v1, v3
	v_fma_f32 v1, v4, v1, -v3
	v_fma_f32 v9, 0.5, v8, v5
	v_fma_f32 v5, v8, 0.5, -v5
	v_fma_f32 v7, -v0, v2, v7
	v_fma_f32 v3, -v0, v2, v1
	v_fmac_f32_e32 v9, v0, v4
	v_fma_f32 v2, -v0, v4, v5
	v_mov_b32_e32 v0, v36
	ds_write_b32 v45, v9
	v_mov_b32_e32 v1, v37
                                        ; implicit-def: $vgpr4_vgpr5
.LBB0_22:
	s_andn2_saveexec_b64 s[4:5], s[4:5]
	s_cbranch_execz .LBB0_24
; %bb.23:
	ds_read_b32 v3, v44 offset:3540
	s_waitcnt lgkmcnt(1)
	v_add_f32_e32 v7, v4, v5
	v_mov_b32_e32 v0, 0
	ds_write_b32 v45, v7
	v_mov_b32_e32 v7, 0
	s_waitcnt lgkmcnt(1)
	v_xor_b32_e32 v3, 0x80000000, v3
	v_sub_f32_e32 v2, v4, v5
	v_mov_b32_e32 v1, 0
	ds_write_b32 v44, v3 offset:3540
	v_mov_b32_e32 v3, v7
.LBB0_24:
	s_or_b64 exec, exec, s[4:5]
	v_mov_b32_e32 v40, 0
	s_waitcnt lgkmcnt(0)
	v_lshlrev_b64 v[4:5], 3, v[39:40]
	v_mov_b32_e32 v8, s7
	v_add_co_u32_e32 v4, vcc, s6, v4
	v_addc_co_u32_e32 v5, vcc, v8, v5, vcc
	global_load_dwordx2 v[4:5], v[4:5], off
	v_mov_b32_e32 v42, v40
	v_lshlrev_b64 v[8:9], 3, v[41:42]
	v_mov_b32_e32 v10, s7
	v_add_co_u32_e32 v8, vcc, s6, v8
	v_addc_co_u32_e32 v9, vcc, v10, v9, vcc
	global_load_dwordx2 v[8:9], v[8:9], off
	v_mov_b32_e32 v39, v40
	v_lshlrev_b64 v[10:11], 3, v[38:39]
	v_mov_b32_e32 v12, s7
	v_add_co_u32_e32 v10, vcc, s6, v10
	v_addc_co_u32_e32 v11, vcc, v12, v11, vcc
	global_load_dwordx2 v[10:11], v[10:11], off
	v_lshlrev_b64 v[0:1], 3, v[0:1]
	ds_write_b32 v45, v7 offset:4
	ds_write_b64 v6, v[2:3] offset:7072
	v_mov_b32_e32 v7, s7
	v_add_co_u32_e32 v0, vcc, s6, v0
	v_addc_co_u32_e32 v1, vcc, v7, v1, vcc
	ds_read_b64 v[2:3], v47
	ds_read_b64 v[12:13], v6 offset:6528
	global_load_dwordx2 v[14:15], v[0:1], off offset:2176
	v_cmp_gt_u32_e32 vcc, 34, v36
	s_waitcnt lgkmcnt(0)
	v_add_f32_e32 v7, v2, v12
	v_sub_f32_e32 v2, v2, v12
	v_add_f32_e32 v16, v3, v13
	v_sub_f32_e32 v3, v3, v13
	v_mul_f32_e32 v13, 0.5, v2
	v_mul_f32_e32 v12, 0.5, v16
	;; [unrolled: 1-line block ×3, first 2 shown]
	s_waitcnt vmcnt(3)
	v_mul_f32_e32 v16, v5, v13
	v_fma_f32 v3, v12, v5, v2
	v_fma_f32 v5, v12, v5, -v2
	v_fma_f32 v2, 0.5, v7, v16
	v_fma_f32 v3, -v4, v13, v3
	v_fma_f32 v7, v7, 0.5, -v16
	v_fmac_f32_e32 v2, v4, v12
	v_fma_f32 v5, -v4, v13, v5
	v_fma_f32 v4, -v4, v12, v7
	ds_write_b64 v47, v[2:3]
	ds_write_b64 v6, v[4:5] offset:6528
	ds_read_b64 v[2:3], v46
	ds_read_b64 v[4:5], v6 offset:5984
	global_load_dwordx2 v[12:13], v[0:1], off offset:2720
	v_lshl_add_u32 v7, v38, 3, v44
	s_waitcnt lgkmcnt(0)
	v_add_f32_e32 v16, v2, v4
	v_sub_f32_e32 v2, v2, v4
	v_add_f32_e32 v17, v3, v5
	v_sub_f32_e32 v3, v3, v5
	v_mul_f32_e32 v5, 0.5, v2
	v_mul_f32_e32 v4, 0.5, v17
	;; [unrolled: 1-line block ×3, first 2 shown]
	s_waitcnt vmcnt(3)
	v_mul_f32_e32 v17, v9, v5
	v_fma_f32 v3, v4, v9, v2
	v_fma_f32 v9, v4, v9, -v2
	v_fma_f32 v2, 0.5, v16, v17
	v_fma_f32 v3, -v8, v5, v3
	v_fma_f32 v16, v16, 0.5, -v17
	v_fmac_f32_e32 v2, v8, v4
	v_fma_f32 v5, -v8, v5, v9
	v_fma_f32 v4, -v8, v4, v16
	ds_write_b64 v46, v[2:3]
	ds_write_b64 v6, v[4:5] offset:5984
	ds_read_b64 v[2:3], v7
	ds_read_b64 v[4:5], v6 offset:5440
	s_waitcnt lgkmcnt(0)
	v_add_f32_e32 v8, v2, v4
	v_sub_f32_e32 v2, v2, v4
	v_add_f32_e32 v9, v3, v5
	v_sub_f32_e32 v3, v3, v5
	v_mul_f32_e32 v5, 0.5, v2
	v_mul_f32_e32 v4, 0.5, v9
	v_mul_f32_e32 v2, 0.5, v3
	s_waitcnt vmcnt(2)
	v_mul_f32_e32 v9, v11, v5
	v_fma_f32 v3, v4, v11, v2
	v_fma_f32 v11, v4, v11, -v2
	v_fma_f32 v2, 0.5, v8, v9
	v_fma_f32 v3, -v10, v5, v3
	v_fma_f32 v8, v8, 0.5, -v9
	v_fmac_f32_e32 v2, v10, v4
	v_fma_f32 v5, -v10, v5, v11
	v_fma_f32 v4, -v10, v4, v8
	ds_write_b64 v7, v[2:3]
	ds_write_b64 v6, v[4:5] offset:5440
	ds_read_b64 v[2:3], v45 offset:2176
	ds_read_b64 v[4:5], v6 offset:4896
	s_waitcnt lgkmcnt(0)
	v_add_f32_e32 v7, v2, v4
	v_sub_f32_e32 v2, v2, v4
	v_add_f32_e32 v8, v3, v5
	v_sub_f32_e32 v3, v3, v5
	v_mul_f32_e32 v5, 0.5, v2
	v_mul_f32_e32 v4, 0.5, v8
	;; [unrolled: 1-line block ×3, first 2 shown]
	s_waitcnt vmcnt(1)
	v_mul_f32_e32 v8, v15, v5
	v_fma_f32 v3, v4, v15, v2
	v_fma_f32 v9, v4, v15, -v2
	v_fma_f32 v2, 0.5, v7, v8
	v_fma_f32 v3, -v14, v5, v3
	v_fma_f32 v7, v7, 0.5, -v8
	v_fmac_f32_e32 v2, v14, v4
	v_fma_f32 v5, -v14, v5, v9
	v_fma_f32 v4, -v14, v4, v7
	ds_write_b64 v45, v[2:3] offset:2176
	ds_write_b64 v6, v[4:5] offset:4896
	ds_read_b64 v[2:3], v45 offset:2720
	ds_read_b64 v[4:5], v6 offset:4352
	s_waitcnt lgkmcnt(0)
	v_add_f32_e32 v7, v2, v4
	v_add_f32_e32 v8, v3, v5
	v_sub_f32_e32 v2, v2, v4
	v_sub_f32_e32 v3, v3, v5
	v_mul_f32_e32 v5, 0.5, v8
	v_mul_f32_e32 v8, 0.5, v2
	;; [unrolled: 1-line block ×3, first 2 shown]
	s_waitcnt vmcnt(0)
	v_mul_f32_e32 v4, v13, v8
	v_fma_f32 v3, v5, v13, v9
	v_fma_f32 v2, 0.5, v7, v4
	v_fma_f32 v3, -v12, v8, v3
	v_fmac_f32_e32 v2, v12, v5
	v_fma_f32 v4, v7, 0.5, -v4
	ds_write_b64 v45, v[2:3] offset:2720
	v_fma_f32 v2, v5, v13, -v9
	v_fma_f32 v4, -v12, v5, v4
	v_fma_f32 v5, -v12, v8, v2
	ds_write_b64 v6, v[4:5] offset:4352
	s_and_saveexec_b64 s[4:5], vcc
	s_cbranch_execz .LBB0_26
; %bb.25:
	global_load_dwordx2 v[0:1], v[0:1], off offset:3264
	ds_read_b64 v[2:3], v45 offset:3264
	ds_read_b64 v[4:5], v6 offset:3808
	s_waitcnt lgkmcnt(0)
	v_add_f32_e32 v7, v2, v4
	v_sub_f32_e32 v2, v2, v4
	v_add_f32_e32 v8, v3, v5
	v_sub_f32_e32 v3, v3, v5
	v_mul_f32_e32 v4, 0.5, v2
	v_mul_f32_e32 v5, 0.5, v8
	;; [unrolled: 1-line block ×3, first 2 shown]
	s_waitcnt vmcnt(0)
	v_mul_f32_e32 v3, v1, v4
	v_fma_f32 v8, v5, v1, v2
	v_fma_f32 v9, v5, v1, -v2
	v_fma_f32 v1, 0.5, v7, v3
	v_fma_f32 v2, -v0, v4, v8
	v_fma_f32 v3, v7, 0.5, -v3
	v_fmac_f32_e32 v1, v0, v5
	v_fma_f32 v4, -v0, v4, v9
	v_fma_f32 v3, -v0, v5, v3
	ds_write_b64 v45, v[1:2] offset:3264
	ds_write_b64 v6, v[3:4] offset:3808
.LBB0_26:
	s_or_b64 exec, exec, s[4:5]
	s_waitcnt lgkmcnt(0)
	s_barrier
	s_and_saveexec_b64 s[4:5], s[0:1]
	s_cbranch_execz .LBB0_29
; %bb.27:
	v_mul_lo_u32 v0, s3, v34
	v_mul_lo_u32 v3, s2, v35
	v_mad_u64_u32 v[1:2], s[0:1], s2, v34, 0
	v_mov_b32_e32 v7, s11
	v_mov_b32_e32 v37, 0
	v_add3_u32 v2, v2, v3, v0
	v_lshlrev_b64 v[1:2], 3, v[1:2]
	v_lshl_add_u32 v0, v36, 3, v44
	v_add_co_u32_e32 v1, vcc, s10, v1
	v_addc_co_u32_e32 v9, vcc, v7, v2, vcc
	v_lshlrev_b64 v[7:8], 3, v[32:33]
	ds_read2_b64 v[3:6], v0 offset1:68
	v_add_co_u32_e32 v2, vcc, v1, v7
	v_addc_co_u32_e32 v1, vcc, v9, v8, vcc
	v_lshlrev_b64 v[7:8], 3, v[36:37]
	v_add_u32_e32 v9, 0x800, v0
	v_add_co_u32_e32 v7, vcc, v2, v7
	v_addc_co_u32_e32 v8, vcc, v1, v8, vcc
	s_waitcnt lgkmcnt(0)
	global_store_dwordx2 v[7:8], v[3:4], off
	v_add_u32_e32 v3, 0x44, v36
	v_mov_b32_e32 v4, v37
	v_lshlrev_b64 v[3:4], 3, v[3:4]
	v_add_u32_e32 v7, 0x88, v36
	v_add_co_u32_e32 v3, vcc, v2, v3
	v_addc_co_u32_e32 v4, vcc, v1, v4, vcc
	global_store_dwordx2 v[3:4], v[5:6], off
	v_mov_b32_e32 v8, v37
	ds_read2_b64 v[3:6], v0 offset0:136 offset1:204
	v_lshlrev_b64 v[7:8], 3, v[7:8]
	s_movk_i32 s0, 0x43
	v_add_co_u32_e32 v7, vcc, v2, v7
	v_addc_co_u32_e32 v8, vcc, v1, v8, vcc
	s_waitcnt lgkmcnt(0)
	global_store_dwordx2 v[7:8], v[3:4], off
	v_add_u32_e32 v3, 0xcc, v36
	v_mov_b32_e32 v4, v37
	v_lshlrev_b64 v[3:4], 3, v[3:4]
	v_add_u32_e32 v7, 0x110, v36
	v_add_co_u32_e32 v3, vcc, v2, v3
	v_addc_co_u32_e32 v4, vcc, v1, v4, vcc
	global_store_dwordx2 v[3:4], v[5:6], off
	v_mov_b32_e32 v8, v37
	ds_read2_b64 v[3:6], v9 offset0:16 offset1:84
	v_lshlrev_b64 v[7:8], 3, v[7:8]
	v_add_co_u32_e32 v7, vcc, v2, v7
	v_addc_co_u32_e32 v8, vcc, v1, v8, vcc
	s_waitcnt lgkmcnt(0)
	global_store_dwordx2 v[7:8], v[3:4], off
	v_add_u32_e32 v3, 0x154, v36
	v_mov_b32_e32 v4, v37
	v_lshlrev_b64 v[3:4], 3, v[3:4]
	v_add_u32_e32 v7, 0x198, v36
	v_add_co_u32_e32 v3, vcc, v2, v3
	v_addc_co_u32_e32 v4, vcc, v1, v4, vcc
	global_store_dwordx2 v[3:4], v[5:6], off
	v_mov_b32_e32 v8, v37
	ds_read2_b64 v[3:6], v9 offset0:152 offset1:220
	v_lshlrev_b64 v[7:8], 3, v[7:8]
	v_add_u32_e32 v9, 0x1000, v0
	v_add_co_u32_e32 v7, vcc, v2, v7
	v_addc_co_u32_e32 v8, vcc, v1, v8, vcc
	s_waitcnt lgkmcnt(0)
	global_store_dwordx2 v[7:8], v[3:4], off
	v_add_u32_e32 v3, 0x1dc, v36
	v_mov_b32_e32 v4, v37
	v_lshlrev_b64 v[3:4], 3, v[3:4]
	v_add_u32_e32 v7, 0x220, v36
	v_add_co_u32_e32 v3, vcc, v2, v3
	v_addc_co_u32_e32 v4, vcc, v1, v4, vcc
	global_store_dwordx2 v[3:4], v[5:6], off
	v_mov_b32_e32 v8, v37
	ds_read2_b64 v[3:6], v9 offset0:32 offset1:100
	v_lshlrev_b64 v[7:8], 3, v[7:8]
	v_add_co_u32_e32 v7, vcc, v2, v7
	v_addc_co_u32_e32 v8, vcc, v1, v8, vcc
	s_waitcnt lgkmcnt(0)
	global_store_dwordx2 v[7:8], v[3:4], off
	v_add_u32_e32 v3, 0x264, v36
	v_mov_b32_e32 v4, v37
	v_lshlrev_b64 v[3:4], 3, v[3:4]
	v_add_u32_e32 v7, 0x2a8, v36
	v_add_co_u32_e32 v3, vcc, v2, v3
	v_addc_co_u32_e32 v4, vcc, v1, v4, vcc
	global_store_dwordx2 v[3:4], v[5:6], off
	v_mov_b32_e32 v8, v37
	ds_read2_b64 v[3:6], v9 offset0:168 offset1:236
	v_lshlrev_b64 v[7:8], 3, v[7:8]
	v_add_co_u32_e32 v7, vcc, v2, v7
	v_addc_co_u32_e32 v8, vcc, v1, v8, vcc
	s_waitcnt lgkmcnt(0)
	global_store_dwordx2 v[7:8], v[3:4], off
	v_add_u32_e32 v3, 0x2ec, v36
	v_mov_b32_e32 v4, v37
	v_lshlrev_b64 v[3:4], 3, v[3:4]
	v_add_co_u32_e32 v3, vcc, v2, v3
	v_addc_co_u32_e32 v4, vcc, v1, v4, vcc
	global_store_dwordx2 v[3:4], v[5:6], off
	v_add_u32_e32 v3, 0x330, v36
	v_mov_b32_e32 v4, v37
	ds_read_b64 v[5:6], v0 offset:6528
	v_lshlrev_b64 v[3:4], 3, v[3:4]
	v_add_co_u32_e32 v3, vcc, v2, v3
	v_addc_co_u32_e32 v4, vcc, v1, v4, vcc
	v_cmp_eq_u32_e32 vcc, s0, v36
	s_waitcnt lgkmcnt(0)
	global_store_dwordx2 v[3:4], v[5:6], off
	s_and_b64 exec, exec, vcc
	s_cbranch_execz .LBB0_29
; %bb.28:
	ds_read_b64 v[3:4], v0 offset:6536
	v_add_co_u32_e32 v0, vcc, 0x1000, v2
	v_addc_co_u32_e32 v1, vcc, 0, v1, vcc
	s_waitcnt lgkmcnt(0)
	global_store_dwordx2 v[0:1], v[3:4], off offset:2976
.LBB0_29:
	s_endpgm
	.section	.rodata,"a",@progbits
	.p2align	6, 0x0
	.amdhsa_kernel fft_rtc_fwd_len884_factors_13_4_17_wgs_204_tpt_68_halfLds_sp_op_CI_CI_unitstride_sbrr_R2C_dirReg
		.amdhsa_group_segment_fixed_size 0
		.amdhsa_private_segment_fixed_size 0
		.amdhsa_kernarg_size 104
		.amdhsa_user_sgpr_count 6
		.amdhsa_user_sgpr_private_segment_buffer 1
		.amdhsa_user_sgpr_dispatch_ptr 0
		.amdhsa_user_sgpr_queue_ptr 0
		.amdhsa_user_sgpr_kernarg_segment_ptr 1
		.amdhsa_user_sgpr_dispatch_id 0
		.amdhsa_user_sgpr_flat_scratch_init 0
		.amdhsa_user_sgpr_private_segment_size 0
		.amdhsa_uses_dynamic_stack 0
		.amdhsa_system_sgpr_private_segment_wavefront_offset 0
		.amdhsa_system_sgpr_workgroup_id_x 1
		.amdhsa_system_sgpr_workgroup_id_y 0
		.amdhsa_system_sgpr_workgroup_id_z 0
		.amdhsa_system_sgpr_workgroup_info 0
		.amdhsa_system_vgpr_workitem_id 0
		.amdhsa_next_free_vgpr 171
		.amdhsa_next_free_sgpr 28
		.amdhsa_reserve_vcc 1
		.amdhsa_reserve_flat_scratch 0
		.amdhsa_float_round_mode_32 0
		.amdhsa_float_round_mode_16_64 0
		.amdhsa_float_denorm_mode_32 3
		.amdhsa_float_denorm_mode_16_64 3
		.amdhsa_dx10_clamp 1
		.amdhsa_ieee_mode 1
		.amdhsa_fp16_overflow 0
		.amdhsa_exception_fp_ieee_invalid_op 0
		.amdhsa_exception_fp_denorm_src 0
		.amdhsa_exception_fp_ieee_div_zero 0
		.amdhsa_exception_fp_ieee_overflow 0
		.amdhsa_exception_fp_ieee_underflow 0
		.amdhsa_exception_fp_ieee_inexact 0
		.amdhsa_exception_int_div_zero 0
	.end_amdhsa_kernel
	.text
.Lfunc_end0:
	.size	fft_rtc_fwd_len884_factors_13_4_17_wgs_204_tpt_68_halfLds_sp_op_CI_CI_unitstride_sbrr_R2C_dirReg, .Lfunc_end0-fft_rtc_fwd_len884_factors_13_4_17_wgs_204_tpt_68_halfLds_sp_op_CI_CI_unitstride_sbrr_R2C_dirReg
                                        ; -- End function
	.section	.AMDGPU.csdata,"",@progbits
; Kernel info:
; codeLenInByte = 13192
; NumSgprs: 32
; NumVgprs: 171
; ScratchSize: 0
; MemoryBound: 0
; FloatMode: 240
; IeeeMode: 1
; LDSByteSize: 0 bytes/workgroup (compile time only)
; SGPRBlocks: 3
; VGPRBlocks: 42
; NumSGPRsForWavesPerEU: 32
; NumVGPRsForWavesPerEU: 171
; Occupancy: 1
; WaveLimiterHint : 1
; COMPUTE_PGM_RSRC2:SCRATCH_EN: 0
; COMPUTE_PGM_RSRC2:USER_SGPR: 6
; COMPUTE_PGM_RSRC2:TRAP_HANDLER: 0
; COMPUTE_PGM_RSRC2:TGID_X_EN: 1
; COMPUTE_PGM_RSRC2:TGID_Y_EN: 0
; COMPUTE_PGM_RSRC2:TGID_Z_EN: 0
; COMPUTE_PGM_RSRC2:TIDIG_COMP_CNT: 0
	.type	__hip_cuid_85bdc1af63e3a17f,@object ; @__hip_cuid_85bdc1af63e3a17f
	.section	.bss,"aw",@nobits
	.globl	__hip_cuid_85bdc1af63e3a17f
__hip_cuid_85bdc1af63e3a17f:
	.byte	0                               ; 0x0
	.size	__hip_cuid_85bdc1af63e3a17f, 1

	.ident	"AMD clang version 19.0.0git (https://github.com/RadeonOpenCompute/llvm-project roc-6.4.0 25133 c7fe45cf4b819c5991fe208aaa96edf142730f1d)"
	.section	".note.GNU-stack","",@progbits
	.addrsig
	.addrsig_sym __hip_cuid_85bdc1af63e3a17f
	.amdgpu_metadata
---
amdhsa.kernels:
  - .args:
      - .actual_access:  read_only
        .address_space:  global
        .offset:         0
        .size:           8
        .value_kind:     global_buffer
      - .offset:         8
        .size:           8
        .value_kind:     by_value
      - .actual_access:  read_only
        .address_space:  global
        .offset:         16
        .size:           8
        .value_kind:     global_buffer
      - .actual_access:  read_only
        .address_space:  global
        .offset:         24
        .size:           8
        .value_kind:     global_buffer
      - .actual_access:  read_only
        .address_space:  global
        .offset:         32
        .size:           8
        .value_kind:     global_buffer
      - .offset:         40
        .size:           8
        .value_kind:     by_value
      - .actual_access:  read_only
        .address_space:  global
        .offset:         48
        .size:           8
        .value_kind:     global_buffer
      - .actual_access:  read_only
        .address_space:  global
        .offset:         56
        .size:           8
        .value_kind:     global_buffer
      - .offset:         64
        .size:           4
        .value_kind:     by_value
      - .actual_access:  read_only
        .address_space:  global
        .offset:         72
        .size:           8
        .value_kind:     global_buffer
      - .actual_access:  read_only
        .address_space:  global
        .offset:         80
        .size:           8
        .value_kind:     global_buffer
      - .actual_access:  read_only
        .address_space:  global
        .offset:         88
        .size:           8
        .value_kind:     global_buffer
      - .actual_access:  write_only
        .address_space:  global
        .offset:         96
        .size:           8
        .value_kind:     global_buffer
    .group_segment_fixed_size: 0
    .kernarg_segment_align: 8
    .kernarg_segment_size: 104
    .language:       OpenCL C
    .language_version:
      - 2
      - 0
    .max_flat_workgroup_size: 204
    .name:           fft_rtc_fwd_len884_factors_13_4_17_wgs_204_tpt_68_halfLds_sp_op_CI_CI_unitstride_sbrr_R2C_dirReg
    .private_segment_fixed_size: 0
    .sgpr_count:     32
    .sgpr_spill_count: 0
    .symbol:         fft_rtc_fwd_len884_factors_13_4_17_wgs_204_tpt_68_halfLds_sp_op_CI_CI_unitstride_sbrr_R2C_dirReg.kd
    .uniform_work_group_size: 1
    .uses_dynamic_stack: false
    .vgpr_count:     171
    .vgpr_spill_count: 0
    .wavefront_size: 64
amdhsa.target:   amdgcn-amd-amdhsa--gfx906
amdhsa.version:
  - 1
  - 2
...

	.end_amdgpu_metadata
